;; amdgpu-corpus repo=ROCm/rocFFT kind=compiled arch=gfx1030 opt=O3
	.text
	.amdgcn_target "amdgcn-amd-amdhsa--gfx1030"
	.amdhsa_code_object_version 6
	.protected	bluestein_single_back_len224_dim1_half_op_CI_CI ; -- Begin function bluestein_single_back_len224_dim1_half_op_CI_CI
	.globl	bluestein_single_back_len224_dim1_half_op_CI_CI
	.p2align	8
	.type	bluestein_single_back_len224_dim1_half_op_CI_CI,@function
bluestein_single_back_len224_dim1_half_op_CI_CI: ; @bluestein_single_back_len224_dim1_half_op_CI_CI
; %bb.0:
	s_load_dwordx4 s[16:19], s[4:5], 0x28
	v_lshrrev_b32_e32 v1, 4, v0
	v_mov_b32_e32 v3, 0
	s_mov_b32 s0, exec_lo
	v_lshl_or_b32 v2, s6, 2, v1
	s_waitcnt lgkmcnt(0)
	v_cmpx_gt_u64_e64 s[16:17], v[2:3]
	s_cbranch_execz .LBB0_2
; %bb.1:
	s_clause 0x1
	s_load_dwordx4 s[8:11], s[4:5], 0x18
	s_load_dwordx4 s[0:3], s[4:5], 0x0
	v_and_b32_e32 v6, 15, v0
	v_mul_u32_u24_e32 v30, 0xe0, v1
	v_lshlrev_b32_e32 v7, 2, v6
	v_or_b32_e32 v32, 32, v6
	v_or_b32_e32 v43, 0x50, v6
	;; [unrolled: 1-line block ×3, first 2 shown]
	v_lshl_or_b32 v28, v30, 2, v7
	v_mul_lo_u16 v63, v32, 37
	v_mul_lo_u16 v45, 0x93, v43
	;; [unrolled: 1-line block ×3, first 2 shown]
	v_lshrrev_b16 v49, 8, v63
	v_lshrrev_b16 v61, 10, v45
	s_waitcnt lgkmcnt(0)
	s_load_dwordx4 s[12:15], s[8:9], 0x0
	s_add_u32 s6, s0, 0x380
	s_addc_u32 s7, s1, 0
	s_clause 0x4
	global_load_dword v14, v7, s[0:1]
	global_load_dword v15, v7, s[0:1] offset:128
	global_load_dword v16, v7, s[0:1] offset:256
	;; [unrolled: 1-line block ×4, first 2 shown]
	v_lshrrev_b16 v62, 10, v44
	v_mul_lo_u16 v54, v61, 7
	v_mul_lo_u16 v56, v62, 7
	v_sub_nc_u16 v70, v42, v56
	s_waitcnt lgkmcnt(0)
	v_mad_u64_u32 v[4:5], null, s14, v2, 0
	v_mad_u64_u32 v[8:9], null, s12, v6, 0
	s_lshl_b64 s[8:9], s[12:13], 7
	v_mov_b32_e32 v0, v5
	v_mov_b32_e32 v5, v9
	v_mad_u64_u32 v[9:10], null, s15, v2, v[0:1]
	v_mad_u64_u32 v[10:11], null, s13, v6, v[5:6]
	s_mulk_i32 s13, 0xfd40
	v_or_b32_e32 v1, v30, v6
	v_mov_b32_e32 v5, v9
	v_mov_b32_e32 v9, v10
	v_lshlrev_b32_e32 v29, 2, v1
	v_lshlrev_b64 v[4:5], 2, v[4:5]
	v_lshlrev_b64 v[8:9], 2, v[8:9]
	v_add_co_u32 v0, vcc_lo, s18, v4
	v_add_co_ci_u32_e32 v5, vcc_lo, s19, v5, vcc_lo
	v_add_co_u32 v4, vcc_lo, v0, v8
	v_add_co_ci_u32_e32 v5, vcc_lo, v5, v9, vcc_lo
	v_mul_u32_u24_e32 v0, 7, v6
	v_add_co_u32 v8, vcc_lo, v4, s8
	v_add_co_ci_u32_e32 v9, vcc_lo, s9, v5, vcc_lo
	s_clause 0x1
	global_load_dword v12, v[4:5], off
	global_load_dword v11, v[8:9], off
	v_add_co_u32 v4, vcc_lo, v8, s8
	v_add_co_ci_u32_e32 v5, vcc_lo, s9, v9, vcc_lo
	v_add_co_u32 v8, vcc_lo, v4, s8
	v_add_co_ci_u32_e32 v9, vcc_lo, s9, v5, vcc_lo
	s_clause 0x1
	global_load_dword v10, v[4:5], off
	global_load_dword v13, v[8:9], off
	v_add_co_u32 v4, vcc_lo, v8, s8
	v_add_co_ci_u32_e32 v5, vcc_lo, s9, v9, vcc_lo
	global_load_dword v19, v7, s[0:1] offset:640
	global_load_dword v31, v[4:5], off
	global_load_dword v21, v7, s[0:1] offset:768
	v_add_co_u32 v23, vcc_lo, v4, s8
	v_add_co_ci_u32_e32 v24, vcc_lo, s9, v5, vcc_lo
	s_clause 0x1
	global_load_dword v20, v7, s[0:1] offset:448
	global_load_dword v22, v7, s[0:1] offset:320
	v_add_co_u32 v8, vcc_lo, v23, s8
	v_add_co_ci_u32_e32 v9, vcc_lo, s9, v24, vcc_lo
	global_load_dword v33, v[23:24], off
	s_clause 0x1
	global_load_dword v23, v7, s[0:1] offset:192
	global_load_dword v24, v7, s[0:1] offset:64
	v_mad_u64_u32 v[4:5], null, 0xfffffd40, s12, v[8:9]
	s_sub_i32 s12, s13, s12
	global_load_dword v35, v[8:9], off
	v_add_nc_u32_e32 v5, s12, v5
	v_add_co_u32 v8, vcc_lo, v4, s8
	v_add_co_ci_u32_e32 v9, vcc_lo, s9, v5, vcc_lo
	global_load_dword v34, v[4:5], off
	v_add_co_u32 v4, vcc_lo, v8, s8
	v_add_co_ci_u32_e32 v5, vcc_lo, s9, v9, vcc_lo
	global_load_dword v25, v7, s[0:1] offset:832
	global_load_dword v41, v[8:9], off
	global_load_dword v26, v7, s[0:1] offset:704
	global_load_dword v39, v[4:5], off
	v_add_co_u32 v4, vcc_lo, v4, s8
	v_add_co_ci_u32_e32 v5, vcc_lo, s9, v5, vcc_lo
	global_load_dword v27, v7, s[0:1] offset:576
	v_add_co_u32 v8, vcc_lo, v4, s8
	v_add_co_ci_u32_e32 v9, vcc_lo, s9, v5, vcc_lo
	global_load_dword v40, v[4:5], off
	v_add_co_u32 v4, vcc_lo, v8, s8
	v_add_co_ci_u32_e32 v5, vcc_lo, s9, v9, vcc_lo
	global_load_dword v36, v[8:9], off
	;; [unrolled: 3-line block ×3, first 2 shown]
	global_load_dword v37, v[8:9], off
	v_mul_lo_u16 v8, v6, 37
	v_or_b32_e32 v4, 48, v6
	s_load_dwordx4 s[60:63], s[10:11], 0x0
	v_or_b32_e32 v9, 64, v6
	v_mov_b32_e32 v5, 2
	v_lshrrev_b16 v48, 8, v8
	v_mul_lo_u16 v47, v4, 37
	v_add_lshl_u32 v8, v30, v0, 2
	v_mul_lo_u16 v46, 0x93, v9
	v_cmp_gt_u32_e32 vcc_lo, 14, v6
	v_mul_lo_u16 v51, v48, 7
	v_lshrrev_b16 v50, 8, v47
	v_lshrrev_b16 v60, 10, v46
	v_sub_nc_u16 v59, v6, v51
	v_mul_lo_u16 v51, v49, 7
	v_mul_lo_u16 v52, v50, 7
	;; [unrolled: 1-line block ×3, first 2 shown]
	v_mad_u16 v48, v48, 14, v59
	v_sub_nc_u16 v66, v32, v51
	s_waitcnt lgkmcnt(0)
	v_mad_u64_u32 v[0:1], null, s62, v2, 0
	s_lshl_b64 s[58:59], s[60:61], 7
	v_mad_u64_u32 v[1:2], null, s63, v2, v[1:2]
	v_or_b32_e32 v2, 16, v6
	v_mul_lo_u16 v65, v2, 37
	v_lshrrev_b16 v64, 8, v65
	v_lshrrev_b16 v80, 9, v65
	s_waitcnt vmcnt(22)
	v_lshrrev_b32_e32 v55, 16, v12
	v_mul_f16_sdwa v57, v14, v12 dst_sel:DWORD dst_unused:UNUSED_PAD src0_sel:WORD_1 src1_sel:DWORD
	s_waitcnt vmcnt(21)
	v_lshrrev_b32_e32 v58, 16, v11
	v_mul_f16_sdwa v51, v14, v55 dst_sel:DWORD dst_unused:UNUSED_PAD src0_sel:WORD_1 src1_sel:DWORD
	v_fma_f16 v55, v14, v55, -v57
	v_mul_f16_sdwa v57, v15, v11 dst_sel:DWORD dst_unused:UNUSED_PAD src0_sel:WORD_1 src1_sel:DWORD
	v_fmac_f16_e32 v51, v14, v12
	v_mul_f16_sdwa v12, v15, v58 dst_sel:DWORD dst_unused:UNUSED_PAD src0_sel:WORD_1 src1_sel:DWORD
	v_fma_f16 v57, v15, v58, -v57
	s_waitcnt vmcnt(20)
	v_lshrrev_b32_e32 v67, 16, v10
	v_mul_f16_sdwa v68, v16, v10 dst_sel:DWORD dst_unused:UNUSED_PAD src0_sel:WORD_1 src1_sel:DWORD
	v_pack_b32_f16 v51, v51, v55
	v_fmac_f16_e32 v12, v15, v11
	s_waitcnt vmcnt(19)
	v_lshrrev_b32_e32 v58, 16, v13
	v_mul_f16_sdwa v11, v16, v67 dst_sel:DWORD dst_unused:UNUSED_PAD src0_sel:WORD_1 src1_sel:DWORD
	v_fma_f16 v55, v16, v67, -v68
	v_mul_f16_sdwa v67, v17, v13 dst_sel:DWORD dst_unused:UNUSED_PAD src0_sel:WORD_1 src1_sel:DWORD
	ds_write_b32 v29, v51
	s_waitcnt vmcnt(17)
	v_lshrrev_b32_e32 v51, 16, v31
	v_fmac_f16_e32 v11, v16, v10
	v_mul_f16_sdwa v10, v17, v58 dst_sel:DWORD dst_unused:UNUSED_PAD src0_sel:WORD_1 src1_sel:DWORD
	v_pack_b32_f16 v12, v12, v57
	v_mul_f16_sdwa v57, v18, v31 dst_sel:DWORD dst_unused:UNUSED_PAD src0_sel:WORD_1 src1_sel:DWORD
	v_fma_f16 v58, v17, v58, -v67
	v_pack_b32_f16 v11, v11, v55
	v_fmac_f16_e32 v10, v17, v13
	v_mul_f16_sdwa v13, v18, v51 dst_sel:DWORD dst_unused:UNUSED_PAD src0_sel:WORD_1 src1_sel:DWORD
	v_fma_f16 v51, v18, v51, -v57
	s_waitcnt vmcnt(13)
	v_lshrrev_b32_e32 v55, 16, v33
	v_mul_f16_sdwa v57, v19, v33 dst_sel:DWORD dst_unused:UNUSED_PAD src0_sel:WORD_1 src1_sel:DWORD
	v_pack_b32_f16 v10, v10, v58
	v_fmac_f16_e32 v13, v18, v31
	v_sub_nc_u16 v68, v43, v54
	v_mul_f16_sdwa v31, v19, v55 dst_sel:DWORD dst_unused:UNUSED_PAD src0_sel:WORD_1 src1_sel:DWORD
	v_fma_f16 v55, v19, v55, -v57
	s_waitcnt vmcnt(10)
	v_lshrrev_b32_e32 v58, 16, v35
	v_mul_f16_sdwa v57, v21, v35 dst_sel:DWORD dst_unused:UNUSED_PAD src0_sel:WORD_1 src1_sel:DWORD
	v_pack_b32_f16 v13, v13, v51
	v_fmac_f16_e32 v31, v19, v33
	v_mul_f16_sdwa v67, v21, v58 dst_sel:DWORD dst_unused:UNUSED_PAD src0_sel:WORD_1 src1_sel:DWORD
	v_fma_f16 v51, v21, v58, -v57
	v_pack_b32_f16 v31, v31, v55
	v_fmac_f16_e32 v67, v21, v35
	s_waitcnt vmcnt(9)
	v_lshrrev_b32_e32 v33, 16, v34
	v_mul_f16_sdwa v35, v24, v34 dst_sel:DWORD dst_unused:UNUSED_PAD src0_sel:WORD_1 src1_sel:DWORD
	s_waitcnt vmcnt(7)
	v_lshrrev_b32_e32 v57, 16, v41
	v_pack_b32_f16 v51, v67, v51
	v_mul_f16_sdwa v55, v24, v33 dst_sel:DWORD dst_unused:UNUSED_PAD src0_sel:WORD_1 src1_sel:DWORD
	v_fma_f16 v33, v24, v33, -v35
	v_mul_f16_sdwa v35, v23, v41 dst_sel:DWORD dst_unused:UNUSED_PAD src0_sel:WORD_1 src1_sel:DWORD
	s_waitcnt vmcnt(5)
	v_lshrrev_b32_e32 v58, 16, v39
	v_mul_f16_sdwa v67, v22, v39 dst_sel:DWORD dst_unused:UNUSED_PAD src0_sel:WORD_1 src1_sel:DWORD
	v_fmac_f16_e32 v55, v24, v34
	v_mul_f16_sdwa v34, v23, v57 dst_sel:DWORD dst_unused:UNUSED_PAD src0_sel:WORD_1 src1_sel:DWORD
	v_fma_f16 v35, v23, v57, -v35
	v_pack_b32_f16 v33, v55, v33
	v_fmac_f16_e32 v34, v23, v41
	s_waitcnt vmcnt(3)
	v_lshrrev_b32_e32 v57, 16, v40
	v_mul_f16_sdwa v41, v22, v58 dst_sel:DWORD dst_unused:UNUSED_PAD src0_sel:WORD_1 src1_sel:DWORD
	v_fma_f16 v55, v22, v58, -v67
	ds_write2_b32 v28, v33, v12 offset0:16 offset1:32
	v_pack_b32_f16 v12, v34, v35
	v_mul_f16_sdwa v33, v20, v57 dst_sel:DWORD dst_unused:UNUSED_PAD src0_sel:WORD_1 src1_sel:DWORD
	s_waitcnt vmcnt(2)
	v_lshrrev_b32_e32 v35, 16, v36
	v_mul_f16_sdwa v58, v20, v40 dst_sel:DWORD dst_unused:UNUSED_PAD src0_sel:WORD_1 src1_sel:DWORD
	v_fmac_f16_e32 v41, v22, v39
	v_mul_f16_sdwa v39, v27, v36 dst_sel:DWORD dst_unused:UNUSED_PAD src0_sel:WORD_1 src1_sel:DWORD
	ds_write2_b32 v28, v12, v11 offset0:48 offset1:64
	s_waitcnt vmcnt(1)
	v_lshrrev_b32_e32 v11, 16, v38
	v_fmac_f16_e32 v33, v20, v40
	s_waitcnt vmcnt(0)
	v_lshrrev_b32_e32 v40, 16, v37
	v_mul_f16_sdwa v12, v27, v35 dst_sel:DWORD dst_unused:UNUSED_PAD src0_sel:WORD_1 src1_sel:DWORD
	v_fma_f16 v34, v20, v57, -v58
	v_fma_f16 v35, v27, v35, -v39
	v_mul_f16_sdwa v39, v26, v38 dst_sel:DWORD dst_unused:UNUSED_PAD src0_sel:WORD_1 src1_sel:DWORD
	v_mul_f16_sdwa v57, v26, v11 dst_sel:DWORD dst_unused:UNUSED_PAD src0_sel:WORD_1 src1_sel:DWORD
	;; [unrolled: 1-line block ×4, first 2 shown]
	v_fmac_f16_e32 v12, v27, v36
	v_fma_f16 v11, v26, v11, -v39
	v_fmac_f16_e32 v57, v26, v38
	v_fma_f16 v36, v25, v40, -v58
	v_fmac_f16_e32 v67, v25, v37
	v_pack_b32_f16 v37, v41, v55
	v_pack_b32_f16 v33, v33, v34
	;; [unrolled: 1-line block ×5, first 2 shown]
	ds_write2_b32 v28, v37, v10 offset0:80 offset1:96
	ds_write2_b32 v28, v33, v13 offset0:112 offset1:128
	;; [unrolled: 1-line block ×4, first 2 shown]
	ds_write_b32 v28, v34 offset:832
	s_waitcnt lgkmcnt(0)
	s_barrier
	buffer_gl0_inv
	ds_read2_b32 v[10:11], v28 offset0:16 offset1:32
	ds_read2_b32 v[12:13], v28 offset0:48 offset1:64
	;; [unrolled: 1-line block ×6, first 2 shown]
	v_sub_nc_u16 v31, v4, v52
	ds_read_b32 v52, v28 offset:832
	ds_read_b32 v54, v29
	v_mul_lo_u16 v51, v64, 7
	v_sub_nc_u16 v67, v9, v53
	v_mul_u32_u24_e32 v53, 7, v2
	v_lshlrev_b32_sdwa v41, v5, v59 dst_sel:DWORD dst_unused:UNUSED_PAD src0_sel:DWORD src1_sel:BYTE_0
	v_lshlrev_b32_sdwa v55, v5, v31 dst_sel:DWORD dst_unused:UNUSED_PAD src0_sel:DWORD src1_sel:BYTE_0
	v_sub_nc_u16 v69, v2, v51
	v_lshlrev_b32_sdwa v51, v5, v66 dst_sel:DWORD dst_unused:UNUSED_PAD src0_sel:DWORD src1_sel:BYTE_0
	v_add_lshl_u32 v58, v30, v53, 2
	s_waitcnt lgkmcnt(0)
	s_barrier
	v_lshlrev_b32_sdwa v53, v5, v69 dst_sel:DWORD dst_unused:UNUSED_PAD src0_sel:DWORD src1_sel:BYTE_0
	buffer_gl0_inv
	v_mad_u16 v31, v50, 14, v31
	v_mul_lo_u16 v59, v80, 14
	v_pk_add_f16 v56, v11, v36
	v_pk_add_f16 v57, v13, v38
	;; [unrolled: 1-line block ×3, first 2 shown]
	v_pk_add_f16 v11, v11, v36 neg_lo:[0,1] neg_hi:[0,1]
	v_pk_add_f16 v13, v13, v38 neg_lo:[0,1] neg_hi:[0,1]
	;; [unrolled: 1-line block ×3, first 2 shown]
	v_pk_add_f16 v36, v12, v52
	v_pk_add_f16 v38, v33, v35
	;; [unrolled: 1-line block ×3, first 2 shown]
	v_pk_add_f16 v12, v12, v52 neg_lo:[0,1] neg_hi:[0,1]
	v_pk_add_f16 v33, v33, v35 neg_lo:[0,1] neg_hi:[0,1]
	v_pk_add_f16 v35, v37, v39 neg_lo:[0,1] neg_hi:[0,1]
	v_pk_add_f16 v37, v57, v56
	v_pk_add_f16 v39, v57, v56 neg_lo:[0,1] neg_hi:[0,1]
	v_pk_add_f16 v52, v56, v71 neg_lo:[0,1] neg_hi:[0,1]
	v_pk_add_f16 v56, v34, v13
	v_pk_add_f16 v72, v11, v34 neg_lo:[0,1] neg_hi:[0,1]
	v_pk_add_f16 v73, v13, v11 neg_lo:[0,1] neg_hi:[0,1]
	;; [unrolled: 1-line block ×3, first 2 shown]
	v_pk_add_f16 v34, v38, v36
	v_pk_add_f16 v75, v35, v33
	v_pk_add_f16 v76, v12, v35 neg_lo:[0,1] neg_hi:[0,1]
	v_pk_add_f16 v77, v33, v12 neg_lo:[0,1] neg_hi:[0,1]
	;; [unrolled: 1-line block ×3, first 2 shown]
	v_pk_add_f16 v35, v71, v37
	v_pk_add_f16 v74, v38, v36 neg_lo:[0,1] neg_hi:[0,1]
	v_pk_add_f16 v36, v36, v40 neg_lo:[0,1] neg_hi:[0,1]
	v_pk_add_f16 v11, v56, v11
	v_pk_mul_f16 v37, 0x3a52, v52 op_sel_hi:[0,1]
	v_pk_mul_f16 v52, 0x3574, v72 op_sel_hi:[0,1]
	;; [unrolled: 1-line block ×3, first 2 shown]
	v_pk_add_f16 v34, v40, v34
	v_pk_add_f16 v57, v71, v57 neg_lo:[0,1] neg_hi:[0,1]
	v_pk_mul_f16 v39, 0x39e0, v39 op_sel_hi:[0,1]
	v_pk_mul_f16 v71, 0x3574, v76 op_sel_hi:[0,1]
	;; [unrolled: 1-line block ×3, first 2 shown]
	v_pk_add_f16 v54, v54, v35
	v_pk_add_f16 v38, v40, v38 neg_lo:[0,1] neg_hi:[0,1]
	v_pk_mul_f16 v36, 0x3a52, v36 op_sel_hi:[0,1]
	v_pk_mul_f16 v40, 0x39e0, v74 op_sel_hi:[0,1]
	v_pk_fma_f16 v72, 0x3574, v72, v56 op_sel_hi:[0,1,1] neg_lo:[0,1,1] neg_hi:[0,1,1]
	v_pk_fma_f16 v56, 0xb846, v13, v56 op_sel_hi:[0,1,1] neg_lo:[0,1,0] neg_hi:[0,1,0]
	v_pk_fma_f16 v13, 0xb846, v13, v52 op_sel_hi:[0,1,1]
	v_pk_add_f16 v10, v10, v34
	v_pk_add_f16 v12, v75, v12
	v_pk_add_f16 v74, v37, v39 op_sel:[1,1] op_sel_hi:[0,0] neg_lo:[1,1] neg_hi:[1,1]
	v_pk_fma_f16 v39, 0x2b26, v57, v39 op_sel_hi:[0,1,1] neg_lo:[0,1,0] neg_hi:[0,1,0]
	v_pk_fma_f16 v37, 0x2b26, v57, v37 op_sel_hi:[0,1,1]
	v_pk_fma_f16 v57, 0x3574, v76, v73 op_sel_hi:[0,1,1] neg_lo:[0,1,1] neg_hi:[0,1,1]
	v_pk_fma_f16 v73, 0xb846, v33, v73 op_sel_hi:[0,1,1] neg_lo:[0,1,0] neg_hi:[0,1,0]
	v_pk_fma_f16 v33, 0xb846, v33, v71 op_sel_hi:[0,1,1]
	v_pk_fma_f16 v35, 0x3cab, v35, v54 op_sel_hi:[0,1,1] neg_lo:[0,1,0] neg_hi:[0,1,0]
	v_pk_add_f16 v52, v36, v40 op_sel:[1,1] op_sel_hi:[0,0] neg_lo:[1,1] neg_hi:[1,1]
	v_pk_fma_f16 v40, 0x2b26, v38, v40 op_sel_hi:[0,1,1] neg_lo:[0,1,0] neg_hi:[0,1,0]
	v_pk_fma_f16 v36, 0x2b26, v38, v36 op_sel_hi:[0,1,1]
	v_pk_fma_f16 v38, 0x370e, v11, v72 op_sel_hi:[0,1,1]
	;; [unrolled: 1-line block ×4, first 2 shown]
	v_pk_fma_f16 v13, 0x3cab, v34, v10 op_sel_hi:[0,1,1] neg_lo:[0,1,0] neg_hi:[0,1,0]
	v_pk_fma_f16 v34, 0x370e, v12, v57 op_sel_hi:[0,1,1]
	v_pk_fma_f16 v57, 0x370e, v12, v73 op_sel_hi:[0,1,1]
	v_pk_fma_f16 v12, 0x370e, v12, v33 op_sel_hi:[0,1,1]
	v_pk_add_f16 v33, v74, v35 op_sel:[0,1] op_sel_hi:[1,0]
	v_pk_add_f16 v39, v39, v35
	v_pk_add_f16 v35, v37, v35
	v_pk_add_f16 v37, v52, v13 op_sel:[0,1] op_sel_hi:[1,0]
	v_pk_add_f16 v40, v40, v13
	v_pk_add_f16 v13, v36, v13
	;; [unrolled: 1-line block ×3, first 2 shown]
	v_pk_add_f16 v33, v33, v38 neg_lo:[0,1] neg_hi:[0,1]
	v_pk_add_f16 v38, v39, v56 op_sel:[0,1] op_sel_hi:[1,0] neg_lo:[0,1] neg_hi:[0,1]
	v_pk_add_f16 v39, v39, v56 op_sel:[0,1] op_sel_hi:[1,0]
	v_pk_add_f16 v52, v35, v11 op_sel:[0,1] op_sel_hi:[1,0]
	v_pk_add_f16 v11, v35, v11 op_sel:[0,1] op_sel_hi:[1,0] neg_lo:[0,1] neg_hi:[0,1]
	v_pk_add_f16 v35, v37, v34
	v_pk_add_f16 v34, v37, v34 neg_lo:[0,1] neg_hi:[0,1]
	v_pk_add_f16 v37, v40, v57 op_sel:[0,1] op_sel_hi:[1,0] neg_lo:[0,1] neg_hi:[0,1]
	v_pk_add_f16 v40, v40, v57 op_sel:[0,1] op_sel_hi:[1,0]
	v_pk_add_f16 v56, v13, v12 op_sel:[0,1] op_sel_hi:[1,0]
	v_pk_add_f16 v12, v13, v12 op_sel:[0,1] op_sel_hi:[1,0] neg_lo:[0,1] neg_hi:[0,1]
	v_alignbit_b32 v13, v33, v36, 16
	v_bfi_b32 v57, 0xffff, v38, v39
	v_bfi_b32 v38, 0xffff, v39, v38
	v_alignbit_b32 v33, v36, v33, 16
	v_bfi_b32 v36, 0xffff, v11, v52
	v_bfi_b32 v11, 0xffff, v52, v11
	v_alignbit_b32 v39, v34, v35, 16
	v_bfi_b32 v52, 0xffff, v37, v40
	v_bfi_b32 v37, 0xffff, v40, v37
	v_alignbit_b32 v34, v35, v34, 16
	v_bfi_b32 v35, 0xffff, v12, v56
	v_bfi_b32 v12, 0xffff, v56, v12
	ds_write2_b32 v8, v13, v57 offset0:2 offset1:3
	ds_write2_b32 v8, v38, v33 offset0:4 offset1:5
	ds_write2_b32 v8, v54, v11 offset1:1
	ds_write_b32 v8, v36 offset:24
	ds_write2_b32 v58, v39, v52 offset0:2 offset1:3
	ds_write2_b32 v58, v37, v34 offset0:4 offset1:5
	ds_write2_b32 v58, v10, v12 offset1:1
	ds_write_b32 v58, v35 offset:24
	v_lshlrev_b32_sdwa v10, v5, v67 dst_sel:DWORD dst_unused:UNUSED_PAD src0_sel:DWORD src1_sel:BYTE_0
	s_waitcnt lgkmcnt(0)
	s_barrier
	buffer_gl0_inv
	s_clause 0x1
	global_load_dword v52, v41, s[2:3]
	global_load_dword v53, v53, s[2:3]
	v_lshlrev_b32_sdwa v11, v5, v68 dst_sel:DWORD dst_unused:UNUSED_PAD src0_sel:DWORD src1_sel:BYTE_0
	v_lshlrev_b32_sdwa v12, v5, v70 dst_sel:DWORD dst_unused:UNUSED_PAD src0_sel:DWORD src1_sel:BYTE_0
	s_clause 0x4
	global_load_dword v54, v51, s[2:3]
	global_load_dword v55, v55, s[2:3]
	;; [unrolled: 1-line block ×5, first 2 shown]
	v_add_co_u32 v10, s8, v6, -14
	v_add_co_ci_u32_e64 v11, null, 0, -1, s8
	v_lshrrev_b16 v41, 11, v46
	v_lshrrev_b16 v75, 11, v44
	v_mul_lo_u16 v35, v60, 14
	v_cndmask_b32_e64 v13, v11, 0, vcc_lo
	v_lshrrev_b16 v11, 9, v63
	v_mul_lo_u16 v36, v61, 14
	v_lshrrev_b16 v74, 11, v45
	v_mul_lo_u16 v37, v62, 14
	v_mul_lo_u16 v39, v41, 14
	;; [unrolled: 1-line block ×4, first 2 shown]
	v_add_nc_u32_sdwa v35, v35, v67 dst_sel:DWORD dst_unused:UNUSED_PAD src0_sel:WORD_0 src1_sel:BYTE_0
	v_add_nc_u32_sdwa v36, v36, v68 dst_sel:DWORD dst_unused:UNUSED_PAD src0_sel:WORD_0 src1_sel:BYTE_0
	v_mul_lo_u16 v40, v74, 14
	v_sub_nc_u16 v76, v32, v38
	v_and_b32_e32 v32, 0xff, v48
	v_mad_u16 v38, v49, 14, v66
	v_sub_nc_u16 v77, v9, v39
	v_add_nc_u32_sdwa v39, v37, v70 dst_sel:DWORD dst_unused:UNUSED_PAD src0_sel:WORD_0 src1_sel:BYTE_0
	v_sub_nc_u16 v79, v42, v60
	v_mad_u16 v60, v64, 14, v69
	v_add_lshl_u32 v66, v30, v32, 2
	v_and_b32_e32 v63, 0xff, v31
	ds_read2_b32 v[31:32], v28 offset0:112 offset1:128
	ds_read_b32 v65, v29
	v_and_b32_e32 v61, 0xff, v38
	v_add_lshl_u32 v67, v30, v35, 2
	v_add_lshl_u32 v68, v30, v36, 2
	ds_read2_b32 v[35:36], v28 offset0:16 offset1:32
	ds_read2_b32 v[37:38], v28 offset0:144 offset1:160
	v_sub_nc_u16 v78, v43, v40
	v_add_lshl_u32 v70, v30, v39, 2
	ds_read2_b32 v[39:40], v28 offset0:48 offset1:64
	ds_read2_b32 v[48:49], v28 offset0:176 offset1:192
	v_sub_nc_u16 v81, v2, v59
	v_and_b32_e32 v64, 0xff, v60
	ds_read2_b32 v[59:60], v28 offset0:80 offset1:96
	ds_read_b32 v69, v28 offset:832
	v_add_lshl_u32 v72, v30, v63, 2
	v_cndmask_b32_e32 v12, v10, v6, vcc_lo
	v_lshrrev_b16 v10, 9, v47
	v_add_lshl_u32 v73, v30, v64, 2
	v_add_lshl_u32 v71, v30, v61, 2
	v_lshlrev_b32_sdwa v61, v5, v81 dst_sel:DWORD dst_unused:UNUSED_PAD src0_sel:DWORD src1_sel:BYTE_0
	v_lshlrev_b64 v[33:34], 2, v[12:13]
	v_mul_lo_u16 v13, v10, 14
	s_waitcnt lgkmcnt(7)
	v_lshrrev_b32_e32 v63, 16, v31
	v_lshrrev_b32_e32 v82, 16, v32
	s_waitcnt lgkmcnt(6)
	v_lshrrev_b32_e32 v64, 16, v65
	v_lshlrev_b32_sdwa v50, v5, v76 dst_sel:DWORD dst_unused:UNUSED_PAD src0_sel:DWORD src1_sel:BYTE_0
	s_waitcnt lgkmcnt(5)
	v_lshrrev_b32_e32 v83, 16, v35
	s_waitcnt lgkmcnt(4)
	v_lshrrev_b32_e32 v84, 16, v37
	v_lshrrev_b32_e32 v86, 16, v38
	v_lshrrev_b32_e32 v85, 16, v36
	s_waitcnt lgkmcnt(2)
	v_lshrrev_b32_e32 v88, 16, v48
	v_lshrrev_b32_e32 v90, 16, v49
	;; [unrolled: 4-line block ×3, first 2 shown]
	v_lshrrev_b32_e32 v91, 16, v59
	v_lshrrev_b32_e32 v93, 16, v60
	v_add_co_u32 v33, vcc_lo, s2, v33
	v_add_co_ci_u32_e32 v34, vcc_lo, s3, v34, vcc_lo
	v_sub_nc_u16 v13, v4, v13
	s_waitcnt vmcnt(0)
	s_barrier
	buffer_gl0_inv
	v_cmp_lt_u32_e32 vcc_lo, 13, v6
	v_lshlrev_b32_sdwa v62, v5, v13 dst_sel:DWORD dst_unused:UNUSED_PAD src0_sel:DWORD src1_sel:BYTE_0
	v_mad_u16 v11, v11, 28, v76
	v_lshrrev_b16 v45, 12, v45
	v_mad_u16 v10, v10, 28, v13
	v_mul_f16_sdwa v94, v63, v52 dst_sel:DWORD dst_unused:UNUSED_PAD src0_sel:DWORD src1_sel:WORD_1
	v_mul_f16_sdwa v96, v31, v52 dst_sel:DWORD dst_unused:UNUSED_PAD src0_sel:DWORD src1_sel:WORD_1
	;; [unrolled: 1-line block ×14, first 2 shown]
	v_fma_f16 v31, v31, v52, -v94
	v_fmac_f16_e32 v96, v63, v52
	v_fma_f16 v32, v32, v53, -v95
	v_fmac_f16_e32 v99, v82, v53
	;; [unrolled: 2-line block ×4, first 2 shown]
	v_fmac_f16_e32 v102, v88, v56
	v_fma_f16 v48, v48, v56, -v103
	v_fma_f16 v49, v49, v57, -v104
	v_fmac_f16_e32 v105, v90, v57
	v_fma_f16 v63, v69, v51, -v106
	v_fmac_f16_e32 v107, v92, v51
	v_sub_f16_e32 v31, v65, v31
	v_sub_f16_e32 v69, v64, v96
	;; [unrolled: 1-line block ×14, first 2 shown]
	v_fma_f16 v65, v65, 2.0, -v31
	v_fma_f16 v64, v64, 2.0, -v69
	v_pack_b32_f16 v31, v31, v69
	v_fma_f16 v69, v83, 2.0, -v82
	v_pack_b32_f16 v82, v32, v82
	v_fma_f16 v32, v35, 2.0, -v32
	v_fma_f16 v35, v36, 2.0, -v37
	;; [unrolled: 1-line block ×3, first 2 shown]
	v_pack_b32_f16 v37, v37, v84
	v_fma_f16 v83, v87, 2.0, -v86
	v_pack_b32_f16 v84, v38, v86
	v_fma_f16 v38, v39, 2.0, -v38
	v_fma_f16 v39, v40, 2.0, -v48
	;; [unrolled: 1-line block ×4, first 2 shown]
	v_pack_b32_f16 v86, v49, v90
	v_fma_f16 v49, v59, 2.0, -v49
	v_fma_f16 v59, v60, 2.0, -v63
	;; [unrolled: 1-line block ×3, first 2 shown]
	v_pack_b32_f16 v64, v65, v64
	v_pack_b32_f16 v32, v32, v69
	;; [unrolled: 1-line block ×9, first 2 shown]
	ds_write2_b32 v66, v64, v31 offset1:7
	ds_write2_b32 v73, v32, v82 offset1:7
	ds_write2_b32 v71, v35, v37 offset1:7
	ds_write2_b32 v72, v36, v84 offset1:7
	ds_write2_b32 v67, v38, v48 offset1:7
	ds_write2_b32 v68, v39, v86 offset1:7
	ds_write2_b32 v70, v40, v63 offset1:7
	s_waitcnt lgkmcnt(0)
	s_barrier
	buffer_gl0_inv
	global_load_dword v59, v[33:34], off offset:28
	v_lshlrev_b32_sdwa v31, v5, v77 dst_sel:DWORD dst_unused:UNUSED_PAD src0_sel:DWORD src1_sel:BYTE_0
	s_clause 0x1
	global_load_dword v60, v61, s[2:3] offset:28
	global_load_dword v61, v50, s[2:3] offset:28
	v_lshlrev_b32_sdwa v32, v5, v78 dst_sel:DWORD dst_unused:UNUSED_PAD src0_sel:DWORD src1_sel:BYTE_0
	v_lshlrev_b32_sdwa v33, v5, v79 dst_sel:DWORD dst_unused:UNUSED_PAD src0_sel:DWORD src1_sel:BYTE_0
	s_clause 0x3
	global_load_dword v62, v62, s[2:3] offset:28
	global_load_dword v63, v31, s[2:3] offset:28
	;; [unrolled: 1-line block ×4, first 2 shown]
	v_cndmask_b32_e64 v32, 0, 28, vcc_lo
	v_lshrrev_b16 v35, 12, v44
	v_lshrrev_b16 v31, 10, v47
	v_mul_lo_u16 v37, v74, 28
	v_mul_lo_u16 v39, v75, 28
	v_add_nc_u32_e32 v12, v12, v32
	v_lshrrev_b16 v32, 12, v46
	v_mul_lo_u16 v35, v35, 28
	v_add_co_u32 v33, s8, v6, -12
	v_add_lshl_u32 v69, v30, v12, 2
	v_mul_lo_u16 v32, v32, 28
	v_mul_lo_u16 v12, v41, 28
	v_cmp_gt_u64_e32 vcc_lo, 28, v[2:3]
	v_add_co_ci_u32_e64 v34, null, 0, -1, s8
	v_sub_nc_u16 v9, v9, v32
	v_mul_lo_u16 v36, v31, 28
	v_sub_nc_u16 v32, v42, v35
	v_add_nc_u32_sdwa v13, v37, v78 dst_sel:DWORD dst_unused:UNUSED_PAD src0_sel:WORD_0 src1_sel:BYTE_0
	v_add_nc_u32_sdwa v12, v12, v77 dst_sel:DWORD dst_unused:UNUSED_PAD src0_sel:WORD_0 src1_sel:BYTE_0
	v_and_b32_e32 v50, 0xff, v9
	v_and_b32_e32 v9, 0xff, v11
	v_add_nc_u32_sdwa v35, v39, v79 dst_sel:DWORD dst_unused:UNUSED_PAD src0_sel:WORD_0 src1_sel:BYTE_0
	v_mul_lo_u16 v38, v45, 28
	v_sub_nc_u16 v44, v4, v36
	v_and_b32_e32 v82, 0xff, v32
	v_and_b32_e32 v36, 0xff, v10
	v_add_lshl_u32 v75, v30, v13, 2
	v_add_lshl_u32 v77, v30, v9, 2
	v_cndmask_b32_e32 v32, v33, v2, vcc_lo
	v_cndmask_b32_e64 v33, v34, 0, vcc_lo
	ds_read2_b32 v[9:10], v28 offset0:112 offset1:128
	ds_read_b32 v13, v29
	v_mad_u16 v42, v80, 28, v81
	v_add_lshl_u32 v74, v30, v12, 2
	v_add_lshl_u32 v76, v30, v35, 2
	ds_read2_b32 v[11:12], v28 offset0:16 offset1:32
	ds_read2_b32 v[34:35], v28 offset0:144 offset1:160
	v_sub_nc_u16 v46, v43, v38
	ds_read2_b32 v[38:39], v28 offset0:48 offset1:64
	ds_read2_b32 v[40:41], v28 offset0:176 offset1:192
	v_add_lshl_u32 v78, v30, v36, 2
	v_lshlrev_b64 v[36:37], 2, v[32:33]
	v_and_b32_e32 v33, 0xff, v42
	ds_read_b32 v48, v28 offset:832
	ds_read2_b32 v[42:43], v28 offset0:80 offset1:96
	v_lshlrev_b32_sdwa v47, v5, v44 dst_sel:DWORD dst_unused:UNUSED_PAD src0_sel:DWORD src1_sel:BYTE_0
	s_waitcnt vmcnt(0) lgkmcnt(0)
	s_barrier
	v_add_lshl_u32 v79, v30, v33, 2
	v_add_co_u32 v36, vcc_lo, s2, v36
	v_add_co_ci_u32_e32 v37, vcc_lo, s3, v37, vcc_lo
	v_lshrrev_b32_e32 v33, 16, v9
	v_lshrrev_b32_e32 v80, 16, v10
	;; [unrolled: 1-line block ×3, first 2 shown]
	buffer_gl0_inv
	v_lshrrev_b32_e32 v81, 16, v11
	v_lshrrev_b32_e32 v83, 16, v34
	;; [unrolled: 1-line block ×11, first 2 shown]
	v_lshlrev_b32_sdwa v5, v5, v46 dst_sel:DWORD dst_unused:UNUSED_PAD src0_sel:DWORD src1_sel:BYTE_0
	v_mad_u16 v31, v31, 56, v44
	v_mul_f16_sdwa v93, v9, v59 dst_sel:DWORD dst_unused:UNUSED_PAD src0_sel:DWORD src1_sel:WORD_1
	v_mul_f16_sdwa v94, v33, v59 dst_sel:DWORD dst_unused:UNUSED_PAD src0_sel:DWORD src1_sel:WORD_1
	;; [unrolled: 1-line block ×14, first 2 shown]
	v_fma_f16 v9, v9, v59, -v94
	v_fmac_f16_e32 v93, v33, v59
	v_fma_f16 v10, v10, v60, -v95
	v_fmac_f16_e32 v96, v80, v60
	;; [unrolled: 2-line block ×7, first 2 shown]
	v_sub_f16_e32 v9, v13, v9
	v_sub_f16_e32 v48, v49, v93
	;; [unrolled: 1-line block ×14, first 2 shown]
	v_fma_f16 v13, v13, 2.0, -v9
	v_fma_f16 v49, v49, 2.0, -v48
	v_pack_b32_f16 v9, v9, v48
	v_fma_f16 v48, v81, 2.0, -v80
	v_pack_b32_f16 v80, v10, v80
	v_fma_f16 v10, v11, 2.0, -v10
	v_fma_f16 v11, v12, 2.0, -v34
	;; [unrolled: 1-line block ×3, first 2 shown]
	v_pack_b32_f16 v34, v34, v83
	v_fma_f16 v81, v86, 2.0, -v85
	v_pack_b32_f16 v83, v35, v85
	v_fma_f16 v35, v38, 2.0, -v35
	v_fma_f16 v38, v39, 2.0, -v40
	v_fma_f16 v39, v90, 2.0, -v87
	v_fma_f16 v84, v91, 2.0, -v88
	v_pack_b32_f16 v85, v41, v88
	v_fma_f16 v41, v42, 2.0, -v41
	v_fma_f16 v42, v43, 2.0, -v33
	;; [unrolled: 1-line block ×3, first 2 shown]
	v_pack_b32_f16 v13, v13, v49
	v_pack_b32_f16 v10, v10, v48
	;; [unrolled: 1-line block ×9, first 2 shown]
	ds_write2_b32 v69, v13, v9 offset1:14
	ds_write2_b32 v79, v10, v80 offset1:14
	;; [unrolled: 1-line block ×7, first 2 shown]
	s_waitcnt lgkmcnt(0)
	s_barrier
	buffer_gl0_inv
	s_clause 0x1
	global_load_dword v9, v7, s[2:3] offset:84
	global_load_dword v11, v7, s[2:3] offset:100
	v_lshlrev_b32_e32 v13, 2, v50
	global_load_dword v10, v[36:37], off offset:84
	v_lshlrev_b32_e32 v33, 2, v82
	s_clause 0x3
	global_load_dword v12, v47, s[2:3] offset:84
	global_load_dword v13, v13, s[2:3] offset:84
	global_load_dword v37, v5, s[2:3] offset:84
	global_load_dword v38, v33, s[2:3] offset:84
	v_mov_b32_e32 v5, v3
	v_add_co_u32 v33, s8, v6, -8
	v_add_co_ci_u32_e64 v34, null, 0, -1, s8
	v_cmp_gt_u64_e32 vcc_lo, 56, v[4:5]
	v_mul_lo_u16 v36, v45, 56
	ds_read2_b32 v[44:45], v28 offset0:112 offset1:128
	ds_read_b32 v83, v29
	v_add_lshl_u32 v39, v30, v50, 2
	v_and_b32_e32 v42, 0xff, v31
	v_add_lshl_u32 v41, v30, v82, 2
	v_cndmask_b32_e32 v33, v33, v4, vcc_lo
	v_cndmask_b32_e64 v34, v34, 0, vcc_lo
	v_add_nc_u32_sdwa v36, v36, v46 dst_sel:DWORD dst_unused:UNUSED_PAD src0_sel:WORD_0 src1_sel:BYTE_0
	ds_read2_b32 v[46:47], v28 offset0:16 offset1:32
	ds_read2_b32 v[48:49], v28 offset0:144 offset1:160
	v_add_lshl_u32 v42, v30, v42, 2
	v_lshlrev_b64 v[34:35], 2, v[33:34]
	v_add_lshl_u32 v40, v30, v36, 2
	v_add_co_u32 v34, vcc_lo, s2, v34
	v_add_co_ci_u32_e32 v35, vcc_lo, s3, v35, vcc_lo
	v_cmp_lt_u64_e32 vcc_lo, 27, v[2:3]
	ds_read2_b32 v[2:3], v28 offset0:176 offset1:192
	ds_read_b32 v50, v28 offset:832
	ds_read2_b32 v[80:81], v28 offset0:48 offset1:64
	s_waitcnt lgkmcnt(6)
	v_lshrrev_b32_e32 v36, 16, v44
	v_lshrrev_b32_e32 v84, 16, v45
	s_waitcnt lgkmcnt(5)
	v_lshrrev_b32_e32 v82, 16, v83
	v_cndmask_b32_e64 v31, 0, 56, vcc_lo
	s_waitcnt lgkmcnt(3)
	v_lshrrev_b32_e32 v86, 16, v48
	v_lshrrev_b32_e32 v88, 16, v49
	;; [unrolled: 1-line block ×4, first 2 shown]
	v_add_nc_u32_e32 v43, v31, v32
	ds_read2_b32 v[31:32], v28 offset0:80 offset1:96
	s_waitcnt vmcnt(0) lgkmcnt(0)
	s_barrier
	buffer_gl0_inv
	v_add_lshl_u32 v43, v30, v43, 2
	v_cmp_lt_u64_e32 vcc_lo, 55, v[4:5]
	v_lshrrev_b32_e32 v89, 16, v2
	v_lshrrev_b32_e32 v90, 16, v3
	;; [unrolled: 1-line block ×5, first 2 shown]
	v_cndmask_b32_e64 v4, 0, 0x70, vcc_lo
	v_add_nc_u32_e32 v4, v4, v33
	v_lshrrev_b32_e32 v94, 16, v31
	v_lshrrev_b32_e32 v95, 16, v32
	v_add_lshl_u32 v4, v30, v4, 2
	v_mul_f16_sdwa v96, v44, v9 dst_sel:DWORD dst_unused:UNUSED_PAD src0_sel:DWORD src1_sel:WORD_1
	v_mul_f16_sdwa v97, v36, v9 dst_sel:DWORD dst_unused:UNUSED_PAD src0_sel:DWORD src1_sel:WORD_1
	;; [unrolled: 1-line block ×14, first 2 shown]
	v_fma_f16 v44, v44, v9, -v97
	v_fmac_f16_e32 v96, v36, v9
	v_fma_f16 v45, v45, v10, -v98
	v_fmac_f16_e32 v99, v84, v10
	;; [unrolled: 2-line block ×7, first 2 shown]
	v_sub_f16_e32 v44, v83, v44
	v_sub_f16_e32 v50, v82, v96
	;; [unrolled: 1-line block ×14, first 2 shown]
	v_fma_f16 v83, v83, 2.0, -v44
	v_fma_f16 v82, v82, 2.0, -v50
	v_pack_b32_f16 v44, v44, v50
	v_fma_f16 v50, v85, 2.0, -v84
	v_pack_b32_f16 v84, v45, v84
	v_fma_f16 v45, v46, 2.0, -v45
	v_fma_f16 v46, v47, 2.0, -v48
	;; [unrolled: 1-line block ×3, first 2 shown]
	v_pack_b32_f16 v48, v48, v86
	v_fma_f16 v85, v92, 2.0, -v88
	v_pack_b32_f16 v86, v49, v88
	v_fma_f16 v49, v80, 2.0, -v49
	v_fma_f16 v80, v81, 2.0, -v2
	;; [unrolled: 1-line block ×4, first 2 shown]
	v_pack_b32_f16 v88, v3, v90
	v_fma_f16 v3, v31, 2.0, -v3
	v_fma_f16 v31, v32, 2.0, -v36
	;; [unrolled: 1-line block ×3, first 2 shown]
	v_pack_b32_f16 v82, v83, v82
	v_pack_b32_f16 v45, v45, v50
	v_pack_b32_f16 v46, v46, v47
	v_pack_b32_f16 v47, v49, v85
	v_pack_b32_f16 v2, v2, v89
	v_pack_b32_f16 v49, v80, v81
	v_pack_b32_f16 v36, v36, v91
	v_pack_b32_f16 v3, v3, v87
	v_pack_b32_f16 v31, v31, v32
	ds_write2_b32 v29, v82, v44 offset1:28
	ds_write2_b32 v43, v45, v84 offset1:28
	ds_write2_b32 v29, v46, v48 offset0:60 offset1:88
	ds_write2_b32 v42, v47, v86 offset1:28
	ds_write2_b32 v39, v49, v2 offset0:112 offset1:140
	;; [unrolled: 2-line block ×3, first 2 shown]
	s_waitcnt lgkmcnt(0)
	s_barrier
	buffer_gl0_inv
	s_clause 0x6
	global_load_dword v44, v7, s[2:3] offset:196
	global_load_dword v45, v7, s[2:3] offset:260
	global_load_dword v46, v[34:35], off offset:196
	global_load_dword v48, v7, s[2:3] offset:324
	global_load_dword v47, v7, s[2:3] offset:356
	;; [unrolled: 1-line block ×4, first 2 shown]
	ds_read2_b32 v[2:3], v28 offset0:112 offset1:128
	ds_read_b32 v36, v29
	ds_read2_b32 v[31:32], v28 offset0:144 offset1:160
	ds_read2_b32 v[34:35], v28 offset0:16 offset1:32
	;; [unrolled: 1-line block ×3, first 2 shown]
	ds_read_b32 v5, v28 offset:832
	ds_read2_b32 v[82:83], v28 offset0:48 offset1:64
	ds_read2_b32 v[84:85], v28 offset0:80 offset1:96
	s_waitcnt vmcnt(0) lgkmcnt(0)
	s_barrier
	buffer_gl0_inv
	v_lshrrev_b32_e32 v30, 16, v2
	v_lshrrev_b32_e32 v86, 16, v3
	;; [unrolled: 1-line block ×14, first 2 shown]
	v_mul_f16_sdwa v98, v2, v44 dst_sel:DWORD dst_unused:UNUSED_PAD src0_sel:DWORD src1_sel:WORD_1
	v_mul_f16_sdwa v99, v30, v44 dst_sel:DWORD dst_unused:UNUSED_PAD src0_sel:DWORD src1_sel:WORD_1
	;; [unrolled: 1-line block ×14, first 2 shown]
	v_fma_f16 v2, v2, v44, -v99
	v_fmac_f16_e32 v98, v30, v44
	v_fma_f16 v3, v3, v45, -v100
	v_fma_f16 v31, v31, v48, -v102
	v_fmac_f16_e32 v101, v86, v45
	v_fmac_f16_e32 v104, v87, v48
	v_fma_f16 v32, v32, v46, -v103
	v_fma_f16 v80, v80, v50, -v105
	;; [unrolled: 1-line block ×3, first 2 shown]
	v_fmac_f16_e32 v107, v88, v46
	v_fmac_f16_e32 v108, v90, v50
	;; [unrolled: 1-line block ×3, first 2 shown]
	v_fma_f16 v5, v5, v47, -v110
	v_fmac_f16_e32 v111, v93, v47
	v_sub_f16_e32 v2, v36, v2
	v_sub_f16_e32 v30, v33, v98
	;; [unrolled: 1-line block ×14, first 2 shown]
	v_fma_f16 v36, v36, 2.0, -v2
	v_fma_f16 v33, v33, 2.0, -v30
	v_pack_b32_f16 v2, v2, v30
	v_fma_f16 v30, v34, 2.0, -v3
	v_fma_f16 v34, v35, 2.0, -v31
	;; [unrolled: 1-line block ×3, first 2 shown]
	v_pack_b32_f16 v3, v3, v86
	v_fma_f16 v86, v92, 2.0, -v87
	v_pack_b32_f16 v31, v31, v87
	v_fma_f16 v87, v94, 2.0, -v88
	;; [unrolled: 2-line block ×3, first 2 shown]
	v_fma_f16 v82, v83, 2.0, -v80
	v_fma_f16 v83, v95, 2.0, -v90
	;; [unrolled: 1-line block ×5, first 2 shown]
	v_pack_b32_f16 v80, v80, v90
	v_fma_f16 v90, v97, 2.0, -v93
	v_pack_b32_f16 v33, v36, v33
	v_pack_b32_f16 v30, v30, v35
	;; [unrolled: 1-line block ×9, first 2 shown]
	ds_write2_b32 v29, v33, v2 offset1:56
	ds_write_b32 v28, v30 offset:64
	ds_write_b32 v29, v3 offset:288
	;; [unrolled: 1-line block ×4, first 2 shown]
	ds_write2_b32 v4, v32, v88 offset1:56
	ds_write2_b32 v29, v35, v36 offset0:120 offset1:136
	ds_write2_b32 v29, v82, v80 offset0:152 offset1:176
	;; [unrolled: 1-line block ×3, first 2 shown]
	s_waitcnt lgkmcnt(0)
	s_barrier
	buffer_gl0_inv
	s_clause 0x6
	global_load_dword v30, v7, s[2:3] offset:420
	global_load_dword v31, v7, s[2:3] offset:484
	global_load_dword v32, v7, s[2:3] offset:548
	global_load_dword v33, v7, s[2:3] offset:612
	global_load_dword v34, v7, s[2:3] offset:676
	global_load_dword v35, v7, s[2:3] offset:740
	global_load_dword v36, v7, s[2:3] offset:804
	ds_read2_b32 v[2:3], v28 offset0:112 offset1:128
	ds_read2_b32 v[80:81], v28 offset0:144 offset1:160
	;; [unrolled: 1-line block ×3, first 2 shown]
	ds_read_b32 v5, v28 offset:832
	ds_read_b32 v90, v29
	ds_read2_b32 v[84:85], v28 offset0:16 offset1:32
	ds_read2_b32 v[86:87], v28 offset0:48 offset1:64
	;; [unrolled: 1-line block ×3, first 2 shown]
	s_waitcnt lgkmcnt(7)
	v_lshrrev_b32_e32 v91, 16, v2
	v_lshrrev_b32_e32 v92, 16, v3
	s_waitcnt lgkmcnt(6)
	v_lshrrev_b32_e32 v93, 16, v80
	v_lshrrev_b32_e32 v94, 16, v81
	;; [unrolled: 3-line block ×3, first 2 shown]
	s_waitcnt lgkmcnt(4)
	v_lshrrev_b32_e32 v97, 16, v5
	s_waitcnt lgkmcnt(3)
	v_lshrrev_b32_e32 v98, 16, v90
	;; [unrolled: 2-line block ×3, first 2 shown]
	v_lshrrev_b32_e32 v100, 16, v85
	s_waitcnt lgkmcnt(1)
	v_lshrrev_b32_e32 v101, 16, v86
	v_lshrrev_b32_e32 v102, 16, v87
	s_waitcnt lgkmcnt(0)
	v_lshrrev_b32_e32 v103, 16, v88
	v_lshrrev_b32_e32 v104, 16, v89
	s_waitcnt vmcnt(6)
	v_mul_f16_sdwa v105, v91, v30 dst_sel:DWORD dst_unused:UNUSED_PAD src0_sel:DWORD src1_sel:WORD_1
	v_mul_f16_sdwa v107, v2, v30 dst_sel:DWORD dst_unused:UNUSED_PAD src0_sel:DWORD src1_sel:WORD_1
	s_waitcnt vmcnt(5)
	v_mul_f16_sdwa v106, v92, v31 dst_sel:DWORD dst_unused:UNUSED_PAD src0_sel:DWORD src1_sel:WORD_1
	v_mul_f16_sdwa v108, v3, v31 dst_sel:DWORD dst_unused:UNUSED_PAD src0_sel:DWORD src1_sel:WORD_1
	;; [unrolled: 3-line block ×7, first 2 shown]
	v_fma_f16 v2, v2, v30, -v105
	v_fmac_f16_e32 v107, v91, v30
	v_fma_f16 v3, v3, v31, -v106
	v_fma_f16 v80, v80, v32, -v109
	v_fmac_f16_e32 v108, v92, v31
	v_fmac_f16_e32 v111, v93, v32
	v_fma_f16 v81, v81, v33, -v110
	v_fma_f16 v82, v82, v34, -v113
	v_fmac_f16_e32 v112, v94, v33
	v_fmac_f16_e32 v115, v95, v34
	v_fma_f16 v83, v83, v35, -v114
	v_fmac_f16_e32 v116, v96, v35
	v_fma_f16 v5, v5, v36, -v117
	v_fmac_f16_e32 v118, v97, v36
	v_sub_f16_e32 v2, v90, v2
	v_sub_f16_e32 v91, v98, v107
	;; [unrolled: 1-line block ×14, first 2 shown]
	v_fma_f16 v90, v90, 2.0, -v2
	v_fma_f16 v98, v98, 2.0, -v91
	v_pack_b32_f16 v2, v2, v91
	v_fma_f16 v91, v99, 2.0, -v92
	v_pack_b32_f16 v92, v3, v92
	v_fma_f16 v3, v84, 2.0, -v3
	v_fma_f16 v84, v85, 2.0, -v80
	;; [unrolled: 1-line block ×3, first 2 shown]
	v_pack_b32_f16 v80, v80, v93
	v_pack_b32_f16 v93, v81, v94
	v_fma_f16 v94, v101, 2.0, -v94
	v_fma_f16 v81, v86, 2.0, -v81
	v_fma_f16 v86, v87, 2.0, -v82
	v_fma_f16 v87, v102, 2.0, -v95
	v_pack_b32_f16 v82, v82, v95
	v_fma_f16 v95, v103, 2.0, -v96
	v_pack_b32_f16 v96, v83, v96
	v_fma_f16 v83, v88, 2.0, -v83
	v_fma_f16 v88, v89, 2.0, -v5
	;; [unrolled: 1-line block ×3, first 2 shown]
	v_pack_b32_f16 v90, v90, v98
	v_pack_b32_f16 v3, v3, v91
	;; [unrolled: 1-line block ×8, first 2 shown]
	ds_write_b32 v29, v90
	ds_write2_b32 v28, v2, v92 offset0:112 offset1:128
	ds_write2_b32 v28, v3, v84 offset0:16 offset1:32
	;; [unrolled: 1-line block ×6, first 2 shown]
	ds_write_b32 v28, v5 offset:832
	s_waitcnt lgkmcnt(0)
	s_barrier
	buffer_gl0_inv
	s_clause 0xd
	global_load_dword v2, v7, s[0:1] offset:896
	global_load_dword v5, v7, s[6:7] offset:128
	;; [unrolled: 1-line block ×14, first 2 shown]
	ds_read_b32 v3, v29
	s_load_dwordx2 s[0:1], s[4:5], 0x38
	s_waitcnt lgkmcnt(0)
	v_lshrrev_b32_e32 v80, 16, v3
	s_waitcnt vmcnt(13)
	v_mul_f16_sdwa v81, v80, v2 dst_sel:DWORD dst_unused:UNUSED_PAD src0_sel:DWORD src1_sel:WORD_1
	v_mul_f16_sdwa v82, v3, v2 dst_sel:DWORD dst_unused:UNUSED_PAD src0_sel:DWORD src1_sel:WORD_1
	v_fma_f16 v3, v3, v2, -v81
	v_fmac_f16_e32 v82, v80, v2
	v_pack_b32_f16 v2, v3, v82
	ds_write_b32 v29, v2
	ds_read2_b32 v[2:3], v28 offset0:16 offset1:32
	ds_read2_b32 v[80:81], v28 offset0:48 offset1:64
	;; [unrolled: 1-line block ×6, first 2 shown]
	ds_read_b32 v101, v28 offset:832
	s_waitcnt lgkmcnt(6)
	v_lshrrev_b32_e32 v102, 16, v3
	s_waitcnt vmcnt(12)
	v_mul_f16_sdwa v103, v3, v5 dst_sel:DWORD dst_unused:UNUSED_PAD src0_sel:DWORD src1_sel:WORD_1
	v_lshrrev_b32_e32 v104, 16, v2
	s_waitcnt vmcnt(8)
	v_mul_f16_sdwa v105, v2, v93 dst_sel:DWORD dst_unused:UNUSED_PAD src0_sel:DWORD src1_sel:WORD_1
	s_waitcnt lgkmcnt(5)
	v_lshrrev_b32_e32 v106, 16, v81
	v_lshrrev_b32_e32 v108, 16, v80
	v_mul_f16_sdwa v121, v102, v5 dst_sel:DWORD dst_unused:UNUSED_PAD src0_sel:DWORD src1_sel:WORD_1
	v_fmac_f16_e32 v103, v102, v5
	v_mul_f16_sdwa v102, v104, v93 dst_sel:DWORD dst_unused:UNUSED_PAD src0_sel:DWORD src1_sel:WORD_1
	s_waitcnt vmcnt(7)
	v_mul_f16_sdwa v107, v81, v94 dst_sel:DWORD dst_unused:UNUSED_PAD src0_sel:DWORD src1_sel:WORD_1
	v_fmac_f16_e32 v105, v104, v93
	v_fma_f16 v3, v3, v5, -v121
	v_mul_f16_sdwa v121, v108, v92 dst_sel:DWORD dst_unused:UNUSED_PAD src0_sel:DWORD src1_sel:WORD_1
	v_fma_f16 v2, v2, v93, -v102
	v_mul_f16_sdwa v93, v106, v94 dst_sel:DWORD dst_unused:UNUSED_PAD src0_sel:DWORD src1_sel:WORD_1
	v_mul_f16_sdwa v109, v80, v92 dst_sel:DWORD dst_unused:UNUSED_PAD src0_sel:DWORD src1_sel:WORD_1
	s_waitcnt lgkmcnt(4)
	v_lshrrev_b32_e32 v110, 16, v83
	v_lshrrev_b32_e32 v112, 16, v82
	s_waitcnt vmcnt(6)
	v_mul_f16_sdwa v111, v83, v95 dst_sel:DWORD dst_unused:UNUSED_PAD src0_sel:DWORD src1_sel:WORD_1
	v_mul_f16_sdwa v113, v82, v91 dst_sel:DWORD dst_unused:UNUSED_PAD src0_sel:DWORD src1_sel:WORD_1
	s_waitcnt lgkmcnt(3)
	v_lshrrev_b32_e32 v114, 16, v85
	v_lshrrev_b32_e32 v116, 16, v84
	s_waitcnt vmcnt(5)
	v_mul_f16_sdwa v115, v85, v96 dst_sel:DWORD dst_unused:UNUSED_PAD src0_sel:DWORD src1_sel:WORD_1
	v_mul_f16_sdwa v117, v84, v90 dst_sel:DWORD dst_unused:UNUSED_PAD src0_sel:DWORD src1_sel:WORD_1
	s_waitcnt lgkmcnt(2)
	v_lshrrev_b32_e32 v118, 16, v87
	s_waitcnt vmcnt(4)
	v_mul_f16_sdwa v119, v87, v97 dst_sel:DWORD dst_unused:UNUSED_PAD src0_sel:DWORD src1_sel:WORD_1
	v_lshrrev_b32_e32 v120, 16, v86
	s_waitcnt lgkmcnt(1)
	v_lshrrev_b32_e32 v5, 16, v89
	s_waitcnt vmcnt(0)
	v_mul_f16_sdwa v102, v89, v7 dst_sel:DWORD dst_unused:UNUSED_PAD src0_sel:DWORD src1_sel:WORD_1
	v_fmac_f16_e32 v107, v106, v94
	v_lshrrev_b32_e32 v106, 16, v88
	v_fma_f16 v81, v81, v94, -v93
	v_fma_f16 v80, v80, v92, -v121
	s_waitcnt lgkmcnt(0)
	v_lshrrev_b32_e32 v94, 16, v101
	v_mul_f16_sdwa v121, v101, v98 dst_sel:DWORD dst_unused:UNUSED_PAD src0_sel:DWORD src1_sel:WORD_1
	v_fmac_f16_e32 v109, v108, v92
	v_mul_f16_sdwa v92, v110, v95 dst_sel:DWORD dst_unused:UNUSED_PAD src0_sel:DWORD src1_sel:WORD_1
	v_mul_f16_sdwa v108, v112, v91 dst_sel:DWORD dst_unused:UNUSED_PAD src0_sel:DWORD src1_sel:WORD_1
	v_fmac_f16_e32 v111, v110, v95
	v_fmac_f16_e32 v113, v112, v91
	v_mul_f16_sdwa v110, v114, v96 dst_sel:DWORD dst_unused:UNUSED_PAD src0_sel:DWORD src1_sel:WORD_1
	v_mul_f16_sdwa v112, v116, v90 dst_sel:DWORD dst_unused:UNUSED_PAD src0_sel:DWORD src1_sel:WORD_1
	;; [unrolled: 1-line block ×4, first 2 shown]
	v_fmac_f16_e32 v115, v114, v96
	v_fmac_f16_e32 v117, v116, v90
	;; [unrolled: 1-line block ×3, first 2 shown]
	v_mul_f16_sdwa v114, v118, v97 dst_sel:DWORD dst_unused:UNUSED_PAD src0_sel:DWORD src1_sel:WORD_1
	v_mul_f16_sdwa v116, v120, v100 dst_sel:DWORD dst_unused:UNUSED_PAD src0_sel:DWORD src1_sel:WORD_1
	v_fmac_f16_e32 v102, v5, v7
	v_mul_f16_sdwa v5, v5, v7 dst_sel:DWORD dst_unused:UNUSED_PAD src0_sel:DWORD src1_sel:WORD_1
	v_mul_f16_sdwa v118, v106, v99 dst_sel:DWORD dst_unused:UNUSED_PAD src0_sel:DWORD src1_sel:WORD_1
	v_fmac_f16_e32 v121, v94, v98
	v_mul_f16_sdwa v94, v94, v98 dst_sel:DWORD dst_unused:UNUSED_PAD src0_sel:DWORD src1_sel:WORD_1
	v_fma_f16 v83, v83, v95, -v92
	v_fma_f16 v82, v82, v91, -v108
	;; [unrolled: 1-line block ×4, first 2 shown]
	v_fmac_f16_e32 v104, v120, v100
	v_fmac_f16_e32 v93, v106, v99
	v_fma_f16 v87, v87, v97, -v114
	v_fma_f16 v86, v86, v100, -v116
	;; [unrolled: 1-line block ×5, first 2 shown]
	v_pack_b32_f16 v3, v3, v103
	v_pack_b32_f16 v2, v2, v105
	;; [unrolled: 1-line block ×13, first 2 shown]
	ds_write2_b32 v28, v2, v3 offset0:16 offset1:32
	ds_write2_b32 v28, v80, v81 offset0:48 offset1:64
	;; [unrolled: 1-line block ×6, first 2 shown]
	ds_write_b32 v28, v88 offset:832
	s_waitcnt lgkmcnt(0)
	s_barrier
	buffer_gl0_inv
	ds_read2_b32 v[2:3], v28 offset0:48 offset1:64
	ds_read_b32 v5, v28 offset:832
	ds_read2_b32 v[80:81], v28 offset0:144 offset1:160
	ds_read2_b32 v[82:83], v28 offset0:112 offset1:128
	;; [unrolled: 1-line block ×5, first 2 shown]
	ds_read_b32 v7, v29
	s_waitcnt lgkmcnt(0)
	s_barrier
	buffer_gl0_inv
	v_pk_add_f16 v90, v2, v5
	v_pk_add_f16 v2, v2, v5 neg_lo:[0,1] neg_hi:[0,1]
	v_pk_add_f16 v5, v3, v81
	v_pk_add_f16 v3, v3, v81 neg_lo:[0,1] neg_hi:[0,1]
	v_pk_add_f16 v81, v82, v80
	v_pk_add_f16 v91, v89, v87
	v_pk_add_f16 v80, v80, v82 neg_lo:[0,1] neg_hi:[0,1]
	v_pk_add_f16 v82, v85, v83
	v_pk_add_f16 v83, v83, v85 neg_lo:[0,1] neg_hi:[0,1]
	;; [unrolled: 2-line block ×3, first 2 shown]
	v_pk_add_f16 v86, v89, v87 neg_lo:[0,1] neg_hi:[0,1]
	v_pk_add_f16 v87, v5, v91
	v_pk_add_f16 v89, v5, v91 neg_lo:[0,1] neg_hi:[0,1]
	v_pk_add_f16 v91, v91, v82 neg_lo:[0,1] neg_hi:[0,1]
	v_pk_add_f16 v94, v85, v90
	v_pk_add_f16 v5, v82, v5 neg_lo:[0,1] neg_hi:[0,1]
	v_pk_add_f16 v92, v83, v3
	v_pk_add_f16 v93, v86, v83 neg_lo:[0,1] neg_hi:[0,1]
	v_pk_add_f16 v83, v83, v3 neg_lo:[0,1] neg_hi:[0,1]
	;; [unrolled: 1-line block ×4, first 2 shown]
	v_pk_add_f16 v96, v80, v84
	v_pk_add_f16 v97, v84, v2 neg_lo:[0,1] neg_hi:[0,1]
	v_pk_add_f16 v84, v80, v84 neg_lo:[0,1] neg_hi:[0,1]
	;; [unrolled: 1-line block ×3, first 2 shown]
	v_pk_add_f16 v82, v82, v87
	v_pk_add_f16 v90, v90, v81 neg_lo:[0,1] neg_hi:[0,1]
	v_pk_add_f16 v85, v81, v85 neg_lo:[0,1] neg_hi:[0,1]
	v_pk_mul_f16 v87, 0x3a52, v91 op_sel_hi:[0,1]
	v_pk_mul_f16 v89, 0x39e0, v89 op_sel_hi:[0,1]
	v_pk_add_f16 v81, v81, v94
	v_pk_add_f16 v86, v92, v86
	v_pk_mul_f16 v3, 0xbb00, v3 op_sel_hi:[0,1]
	v_pk_mul_f16 v91, 0xb574, v93 op_sel_hi:[0,1]
	;; [unrolled: 1-line block ×5, first 2 shown]
	v_pk_add_f16 v7, v7, v82
	v_pk_add_f16 v2, v96, v2
	v_pk_mul_f16 v90, 0x3a52, v90 op_sel_hi:[0,1]
	v_pk_add_f16 v96, v87, v89 op_sel:[1,1] op_sel_hi:[0,0] neg_lo:[1,1] neg_hi:[1,1]
	v_pk_fma_f16 v89, 0x2b26, v5, v89 op_sel_hi:[0,1,1] neg_lo:[0,1,0] neg_hi:[0,1,0]
	v_pk_fma_f16 v5, 0x2b26, v5, v87 op_sel_hi:[0,1,1]
	v_pk_add_f16 v87, v88, v81
	v_pk_fma_f16 v93, 0xb574, v93, v3 op_sel_hi:[0,1,1] neg_lo:[0,1,1] neg_hi:[0,1,1]
	v_pk_fma_f16 v3, 0x3846, v83, v3 op_sel_hi:[0,1,1] neg_lo:[0,1,0] neg_hi:[0,1,0]
	v_pk_fma_f16 v83, 0x3846, v83, v91 op_sel_hi:[0,1,1]
	v_pk_fma_f16 v80, 0xb574, v80, v92 op_sel_hi:[0,1,1] neg_lo:[0,1,1] neg_hi:[0,1,1]
	v_pk_fma_f16 v91, 0x3846, v84, v92 op_sel_hi:[0,1,1] neg_lo:[0,1,0] neg_hi:[0,1,0]
	v_pk_fma_f16 v84, 0x3846, v84, v95 op_sel_hi:[0,1,1]
	v_pk_fma_f16 v82, 0x3cab, v82, v7 op_sel_hi:[0,1,1] neg_lo:[0,1,0] neg_hi:[0,1,0]
	v_pk_add_f16 v88, v90, v94 op_sel:[1,1] op_sel_hi:[0,0] neg_lo:[1,1] neg_hi:[1,1]
	v_pk_fma_f16 v92, 0x2b26, v85, v94 op_sel_hi:[0,1,1] neg_lo:[0,1,0] neg_hi:[0,1,0]
	v_pk_fma_f16 v85, 0x2b26, v85, v90 op_sel_hi:[0,1,1]
	v_pk_fma_f16 v81, 0x3cab, v81, v87 op_sel_hi:[0,1,1] neg_lo:[0,1,0] neg_hi:[0,1,0]
	v_pk_fma_f16 v90, 0xb70e, v86, v93 op_sel_hi:[0,1,1]
	v_pk_fma_f16 v3, 0xb70e, v86, v3 op_sel_hi:[0,1,1]
	;; [unrolled: 1-line block ×6, first 2 shown]
	v_pk_add_f16 v84, v96, v82 op_sel:[0,1] op_sel_hi:[1,0]
	v_pk_add_f16 v89, v89, v82
	v_pk_add_f16 v5, v5, v82
	v_pk_add_f16 v82, v88, v81 op_sel:[0,1] op_sel_hi:[1,0]
	v_pk_add_f16 v88, v92, v81
	v_pk_add_f16 v81, v85, v81
	;; [unrolled: 1-line block ×3, first 2 shown]
	v_pk_add_f16 v84, v84, v90 neg_lo:[0,1] neg_hi:[0,1]
	v_pk_add_f16 v90, v89, v3 op_sel:[0,1] op_sel_hi:[1,0] neg_lo:[0,1] neg_hi:[0,1]
	v_pk_add_f16 v3, v89, v3 op_sel:[0,1] op_sel_hi:[1,0]
	v_pk_add_f16 v89, v5, v83 op_sel:[0,1] op_sel_hi:[1,0]
	v_pk_add_f16 v5, v5, v83 op_sel:[0,1] op_sel_hi:[1,0] neg_lo:[0,1] neg_hi:[0,1]
	v_pk_add_f16 v83, v82, v80
	v_pk_add_f16 v80, v82, v80 neg_lo:[0,1] neg_hi:[0,1]
	v_pk_add_f16 v82, v88, v86 op_sel:[0,1] op_sel_hi:[1,0] neg_lo:[0,1] neg_hi:[0,1]
	v_pk_add_f16 v86, v88, v86 op_sel:[0,1] op_sel_hi:[1,0]
	v_pk_add_f16 v88, v81, v2 op_sel:[0,1] op_sel_hi:[1,0]
	v_pk_add_f16 v2, v81, v2 op_sel:[0,1] op_sel_hi:[1,0] neg_lo:[0,1] neg_hi:[0,1]
	v_alignbit_b32 v81, v84, v85, 16
	v_bfi_b32 v91, 0xffff, v90, v3
	v_bfi_b32 v3, 0xffff, v3, v90
	v_alignbit_b32 v84, v85, v84, 16
	v_bfi_b32 v85, 0xffff, v89, v5
	v_bfi_b32 v5, 0xffff, v5, v89
	v_alignbit_b32 v89, v80, v83, 16
	v_bfi_b32 v90, 0xffff, v82, v86
	v_bfi_b32 v82, 0xffff, v86, v82
	v_alignbit_b32 v80, v83, v80, 16
	v_bfi_b32 v83, 0xffff, v88, v2
	v_bfi_b32 v2, 0xffff, v2, v88
	ds_write2_b32 v8, v81, v91 offset0:2 offset1:3
	ds_write2_b32 v8, v3, v84 offset0:4 offset1:5
	ds_write2_b32 v8, v7, v85 offset1:1
	ds_write_b32 v8, v5 offset:24
	ds_write2_b32 v58, v89, v90 offset0:2 offset1:3
	ds_write2_b32 v58, v82, v80 offset0:4 offset1:5
	ds_write2_b32 v58, v87, v83 offset1:1
	ds_write_b32 v58, v2 offset:24
	s_waitcnt lgkmcnt(0)
	s_barrier
	buffer_gl0_inv
	ds_read2_b32 v[2:3], v28 offset0:112 offset1:128
	ds_read_b32 v5, v29
	ds_read2_b32 v[7:8], v28 offset0:16 offset1:32
	ds_read2_b32 v[80:81], v28 offset0:144 offset1:160
	;; [unrolled: 1-line block ×4, first 2 shown]
	ds_read_b32 v58, v28 offset:832
	ds_read2_b32 v[86:87], v28 offset0:80 offset1:96
	s_waitcnt lgkmcnt(0)
	s_barrier
	buffer_gl0_inv
	v_lshrrev_b32_e32 v88, 16, v2
	v_lshrrev_b32_e32 v91, 16, v3
	v_mul_f16_sdwa v89, v52, v2 dst_sel:DWORD dst_unused:UNUSED_PAD src0_sel:WORD_1 src1_sel:DWORD
	v_mul_f16_sdwa v92, v53, v3 dst_sel:DWORD dst_unused:UNUSED_PAD src0_sel:WORD_1 src1_sel:DWORD
	v_lshrrev_b32_e32 v94, 16, v80
	v_mul_f16_sdwa v95, v54, v80 dst_sel:DWORD dst_unused:UNUSED_PAD src0_sel:WORD_1 src1_sel:DWORD
	v_lshrrev_b32_e32 v97, 16, v81
	;; [unrolled: 2-line block ×3, first 2 shown]
	v_lshrrev_b32_e32 v102, 16, v85
	v_mul_f16_sdwa v101, v56, v84 dst_sel:DWORD dst_unused:UNUSED_PAD src0_sel:WORD_1 src1_sel:DWORD
	v_mul_f16_sdwa v104, v57, v85 dst_sel:DWORD dst_unused:UNUSED_PAD src0_sel:WORD_1 src1_sel:DWORD
	v_lshrrev_b32_e32 v105, 16, v58
	v_mul_f16_sdwa v109, v52, v88 dst_sel:DWORD dst_unused:UNUSED_PAD src0_sel:WORD_1 src1_sel:DWORD
	v_mul_f16_sdwa v110, v53, v91 dst_sel:DWORD dst_unused:UNUSED_PAD src0_sel:WORD_1 src1_sel:DWORD
	v_fma_f16 v88, v52, v88, -v89
	v_fma_f16 v89, v53, v91, -v92
	v_mul_f16_sdwa v91, v54, v94 dst_sel:DWORD dst_unused:UNUSED_PAD src0_sel:WORD_1 src1_sel:DWORD
	v_fma_f16 v92, v54, v94, -v95
	v_mul_f16_sdwa v94, v55, v97 dst_sel:DWORD dst_unused:UNUSED_PAD src0_sel:WORD_1 src1_sel:DWORD
	;; [unrolled: 2-line block ×3, first 2 shown]
	v_mul_f16_sdwa v98, v57, v102 dst_sel:DWORD dst_unused:UNUSED_PAD src0_sel:WORD_1 src1_sel:DWORD
	v_lshrrev_b32_e32 v90, 16, v5
	v_lshrrev_b32_e32 v93, 16, v7
	v_mul_f16_sdwa v106, v51, v58 dst_sel:DWORD dst_unused:UNUSED_PAD src0_sel:WORD_1 src1_sel:DWORD
	v_fma_f16 v100, v56, v100, -v101
	v_fma_f16 v101, v57, v102, -v104
	v_mul_f16_sdwa v102, v51, v105 dst_sel:DWORD dst_unused:UNUSED_PAD src0_sel:WORD_1 src1_sel:DWORD
	v_fmac_f16_e32 v109, v52, v2
	v_fmac_f16_e32 v110, v53, v3
	v_lshrrev_b32_e32 v96, 16, v8
	v_fmac_f16_e32 v91, v54, v80
	v_lshrrev_b32_e32 v99, 16, v82
	;; [unrolled: 2-line block ×3, first 2 shown]
	v_lshrrev_b32_e32 v107, 16, v86
	v_fmac_f16_e32 v97, v56, v84
	v_fmac_f16_e32 v98, v57, v85
	v_lshrrev_b32_e32 v108, 16, v87
	v_fma_f16 v104, v51, v105, -v106
	v_sub_f16_e32 v2, v90, v88
	v_sub_f16_e32 v3, v93, v89
	v_fmac_f16_e32 v102, v51, v58
	v_sub_f16_e32 v56, v5, v109
	v_sub_f16_e32 v58, v7, v110
	;; [unrolled: 1-line block ×11, first 2 shown]
	v_fma_f16 v57, v90, 2.0, -v2
	v_fma_f16 v80, v93, 2.0, -v3
	v_sub_f16_e32 v93, v87, v102
	v_fma_f16 v5, v5, 2.0, -v56
	v_fma_f16 v7, v7, 2.0, -v58
	;; [unrolled: 1-line block ×5, first 2 shown]
	v_pack_b32_f16 v2, v56, v2
	v_fma_f16 v56, v82, 2.0, -v85
	v_fma_f16 v90, v103, 2.0, -v54
	;; [unrolled: 1-line block ×3, first 2 shown]
	v_pack_b32_f16 v3, v58, v3
	v_pack_b32_f16 v52, v81, v52
	v_fma_f16 v58, v83, 2.0, -v89
	v_fma_f16 v81, v86, 2.0, -v91
	;; [unrolled: 1-line block ×4, first 2 shown]
	v_pack_b32_f16 v5, v5, v57
	v_pack_b32_f16 v7, v7, v80
	;; [unrolled: 1-line block ×11, first 2 shown]
	ds_write2_b32 v66, v5, v2 offset1:7
	ds_write2_b32 v73, v7, v3 offset1:7
	;; [unrolled: 1-line block ×7, first 2 shown]
	s_waitcnt lgkmcnt(0)
	s_barrier
	buffer_gl0_inv
	ds_read2_b32 v[2:3], v28 offset0:112 offset1:128
	ds_read_b32 v5, v29
	ds_read2_b32 v[7:8], v28 offset0:16 offset1:32
	ds_read2_b32 v[51:52], v28 offset0:144 offset1:160
	;; [unrolled: 1-line block ×3, first 2 shown]
	ds_read_b32 v66, v28 offset:832
	ds_read2_b32 v[55:56], v28 offset0:48 offset1:64
	ds_read2_b32 v[57:58], v28 offset0:80 offset1:96
	s_waitcnt lgkmcnt(0)
	s_barrier
	buffer_gl0_inv
	v_lshrrev_b32_e32 v67, 16, v2
	v_mul_f16_sdwa v68, v59, v2 dst_sel:DWORD dst_unused:UNUSED_PAD src0_sel:WORD_1 src1_sel:DWORD
	v_lshrrev_b32_e32 v71, 16, v3
	v_mul_f16_sdwa v72, v60, v3 dst_sel:DWORD dst_unused:UNUSED_PAD src0_sel:WORD_1 src1_sel:DWORD
	;; [unrolled: 2-line block ×7, first 2 shown]
	v_fma_f16 v68, v59, v67, -v68
	v_mul_f16_sdwa v67, v59, v67 dst_sel:DWORD dst_unused:UNUSED_PAD src0_sel:WORD_1 src1_sel:DWORD
	v_mul_f16_sdwa v95, v60, v71 dst_sel:DWORD dst_unused:UNUSED_PAD src0_sel:WORD_1 src1_sel:DWORD
	v_fma_f16 v71, v60, v71, -v72
	v_fma_f16 v72, v61, v80, -v81
	v_mul_f16_sdwa v80, v61, v80 dst_sel:DWORD dst_unused:UNUSED_PAD src0_sel:WORD_1 src1_sel:DWORD
	v_mul_f16_sdwa v81, v62, v83 dst_sel:DWORD dst_unused:UNUSED_PAD src0_sel:WORD_1 src1_sel:DWORD
	v_fma_f16 v83, v62, v83, -v84
	v_fma_f16 v84, v63, v85, -v86
	v_mul_f16_sdwa v85, v63, v85 dst_sel:DWORD dst_unused:UNUSED_PAD src0_sel:WORD_1 src1_sel:DWORD
	v_lshrrev_b32_e32 v70, 16, v5
	v_mul_f16_sdwa v86, v64, v87 dst_sel:DWORD dst_unused:UNUSED_PAD src0_sel:WORD_1 src1_sel:DWORD
	v_fma_f16 v87, v64, v87, -v88
	v_fma_f16 v88, v65, v89, -v90
	v_mul_f16_sdwa v89, v65, v89 dst_sel:DWORD dst_unused:UNUSED_PAD src0_sel:WORD_1 src1_sel:DWORD
	v_fmac_f16_e32 v67, v59, v2
	v_lshrrev_b32_e32 v73, 16, v7
	v_fmac_f16_e32 v95, v60, v3
	v_lshrrev_b32_e32 v82, 16, v8
	;; [unrolled: 2-line block ×5, first 2 shown]
	v_lshrrev_b32_e32 v94, 16, v58
	v_sub_f16_e32 v2, v70, v68
	v_fmac_f16_e32 v86, v64, v54
	v_fmac_f16_e32 v89, v65, v66
	v_sub_f16_e32 v60, v5, v67
	v_sub_f16_e32 v3, v73, v71
	;; [unrolled: 1-line block ×11, first 2 shown]
	v_fma_f16 v61, v70, 2.0, -v2
	v_sub_f16_e32 v68, v57, v86
	v_sub_f16_e32 v70, v58, v89
	v_fma_f16 v5, v5, 2.0, -v60
	v_fma_f16 v63, v73, 2.0, -v3
	;; [unrolled: 1-line block ×11, first 2 shown]
	v_pack_b32_f16 v2, v60, v2
	v_fma_f16 v57, v57, 2.0, -v68
	v_fma_f16 v58, v58, 2.0, -v70
	v_pack_b32_f16 v5, v5, v61
	v_pack_b32_f16 v3, v62, v3
	v_pack_b32_f16 v7, v7, v63
	v_pack_b32_f16 v51, v64, v51
	v_pack_b32_f16 v8, v8, v65
	v_pack_b32_f16 v52, v66, v52
	v_pack_b32_f16 v55, v55, v71
	v_pack_b32_f16 v53, v67, v53
	v_pack_b32_f16 v56, v56, v72
	v_pack_b32_f16 v54, v68, v54
	v_pack_b32_f16 v59, v70, v59
	v_pack_b32_f16 v57, v57, v73
	v_pack_b32_f16 v58, v58, v80
	ds_write2_b32 v69, v5, v2 offset1:14
	ds_write2_b32 v79, v7, v3 offset1:14
	;; [unrolled: 1-line block ×7, first 2 shown]
	s_waitcnt lgkmcnt(0)
	s_barrier
	buffer_gl0_inv
	ds_read2_b32 v[2:3], v28 offset0:112 offset1:128
	v_mad_u64_u32 v[51:52], null, s60, v6, 0
	ds_read2_b32 v[7:8], v28 offset0:144 offset1:160
	ds_read2_b32 v[53:54], v28 offset0:176 offset1:192
	v_mov_b32_e32 v5, v52
	ds_read_b32 v52, v28 offset:832
	ds_read2_b32 v[55:56], v28 offset0:16 offset1:32
	ds_read2_b32 v[57:58], v28 offset0:48 offset1:64
	;; [unrolled: 1-line block ×3, first 2 shown]
	ds_read_b32 v61, v29
	s_waitcnt lgkmcnt(0)
	s_barrier
	buffer_gl0_inv
	v_mad_u64_u32 v[5:6], null, s61, v6, v[5:6]
	v_lshrrev_b32_e32 v62, 16, v2
	v_lshrrev_b32_e32 v63, 16, v3
	v_mul_f16_sdwa v64, v9, v2 dst_sel:DWORD dst_unused:UNUSED_PAD src0_sel:WORD_1 src1_sel:DWORD
	v_lshrrev_b32_e32 v65, 16, v7
	v_mul_f16_sdwa v66, v10, v3 dst_sel:DWORD dst_unused:UNUSED_PAD src0_sel:WORD_1 src1_sel:DWORD
	;; [unrolled: 2-line block ×4, first 2 shown]
	v_mul_f16_sdwa v71, v13, v53 dst_sel:DWORD dst_unused:UNUSED_PAD src0_sel:WORD_1 src1_sel:DWORD
	v_lshrrev_b32_e32 v72, 16, v54
	v_mul_f16_sdwa v73, v37, v54 dst_sel:DWORD dst_unused:UNUSED_PAD src0_sel:WORD_1 src1_sel:DWORD
	v_lshrrev_b32_e32 v74, 16, v52
	v_mul_f16_sdwa v83, v9, v62 dst_sel:DWORD dst_unused:UNUSED_PAD src0_sel:WORD_1 src1_sel:DWORD
	v_mul_f16_sdwa v84, v10, v63 dst_sel:DWORD dst_unused:UNUSED_PAD src0_sel:WORD_1 src1_sel:DWORD
	v_fma_f16 v62, v9, v62, -v64
	v_mul_f16_sdwa v64, v11, v65 dst_sel:DWORD dst_unused:UNUSED_PAD src0_sel:WORD_1 src1_sel:DWORD
	v_fma_f16 v63, v10, v63, -v66
	;; [unrolled: 2-line block ×3, first 2 shown]
	v_mul_f16_sdwa v68, v13, v70 dst_sel:DWORD dst_unused:UNUSED_PAD src0_sel:WORD_1 src1_sel:DWORD
	v_mul_f16_sdwa v75, v38, v52 dst_sel:DWORD dst_unused:UNUSED_PAD src0_sel:WORD_1 src1_sel:DWORD
	v_lshrrev_b32_e32 v82, 16, v61
	v_fma_f16 v67, v12, v67, -v69
	v_fma_f16 v69, v13, v70, -v71
	v_mul_f16_sdwa v70, v37, v72 dst_sel:DWORD dst_unused:UNUSED_PAD src0_sel:WORD_1 src1_sel:DWORD
	v_fma_f16 v71, v37, v72, -v73
	v_mul_f16_sdwa v72, v38, v74 dst_sel:DWORD dst_unused:UNUSED_PAD src0_sel:WORD_1 src1_sel:DWORD
	v_fmac_f16_e32 v83, v9, v2
	v_lshrrev_b32_e32 v76, 16, v55
	v_fmac_f16_e32 v84, v10, v3
	v_lshrrev_b32_e32 v77, 16, v56
	;; [unrolled: 2-line block ×5, first 2 shown]
	v_lshrrev_b32_e32 v81, 16, v60
	v_fma_f16 v73, v38, v74, -v75
	v_fmac_f16_e32 v70, v37, v54
	v_fmac_f16_e32 v72, v38, v52
	v_sub_f16_e32 v2, v82, v62
	v_sub_f16_e32 v54, v61, v83
	;; [unrolled: 1-line block ×14, first 2 shown]
	v_fma_f16 v62, v82, 2.0, -v2
	v_fma_f16 v61, v61, 2.0, -v54
	;; [unrolled: 1-line block ×14, first 2 shown]
	v_pack_b32_f16 v2, v54, v2
	v_pack_b32_f16 v3, v12, v3
	;; [unrolled: 1-line block ×14, first 2 shown]
	ds_write2_b32 v29, v12, v2 offset1:28
	ds_write2_b32 v43, v13, v3 offset1:28
	ds_write2_b32 v29, v37, v7 offset0:60 offset1:88
	ds_write2_b32 v42, v38, v8 offset1:28
	ds_write2_b32 v39, v52, v9 offset0:112 offset1:140
	ds_write2_b32 v40, v53, v10 offset1:28
	ds_write2_b32 v41, v54, v11 offset0:168 offset1:196
	s_waitcnt lgkmcnt(0)
	s_barrier
	buffer_gl0_inv
	ds_read_b32 v13, v29
	ds_read2_b32 v[2:3], v28 offset0:112 offset1:128
	ds_read2_b32 v[7:8], v28 offset0:16 offset1:32
	ds_read2_b32 v[9:10], v28 offset0:144 offset1:160
	ds_read2_b32 v[11:12], v28 offset0:176 offset1:192
	v_mov_b32_e32 v52, v5
	ds_read_b32 v39, v28 offset:832
	ds_read2_b32 v[5:6], v28 offset0:48 offset1:64
	ds_read2_b32 v[37:38], v28 offset0:80 offset1:96
	s_waitcnt lgkmcnt(0)
	s_barrier
	buffer_gl0_inv
	v_lshrrev_b32_e32 v40, 16, v13
	v_lshrrev_b32_e32 v41, 16, v2
	v_mul_f16_sdwa v43, v44, v2 dst_sel:DWORD dst_unused:UNUSED_PAD src0_sel:WORD_1 src1_sel:DWORD
	v_lshrrev_b32_e32 v53, 16, v3
	v_mul_f16_sdwa v54, v45, v3 dst_sel:DWORD dst_unused:UNUSED_PAD src0_sel:WORD_1 src1_sel:DWORD
	v_lshrrev_b32_e32 v55, 16, v9
	v_lshrrev_b32_e32 v56, 16, v10
	v_mul_f16_sdwa v59, v46, v10 dst_sel:DWORD dst_unused:UNUSED_PAD src0_sel:WORD_1 src1_sel:DWORD
	v_lshrrev_b32_e32 v60, 16, v12
	v_mul_f16_sdwa v57, v48, v9 dst_sel:DWORD dst_unused:UNUSED_PAD src0_sel:WORD_1 src1_sel:DWORD
	;; [unrolled: 2-line block ×4, first 2 shown]
	v_fma_f16 v41, v44, v41, -v43
	v_mul_f16_sdwa v43, v45, v53 dst_sel:DWORD dst_unused:UNUSED_PAD src0_sel:WORD_1 src1_sel:DWORD
	v_fma_f16 v53, v45, v53, -v54
	v_mul_f16_sdwa v54, v48, v55 dst_sel:DWORD dst_unused:UNUSED_PAD src0_sel:WORD_1 src1_sel:DWORD
	v_mul_f16_sdwa v62, v49, v12 dst_sel:DWORD dst_unused:UNUSED_PAD src0_sel:WORD_1 src1_sel:DWORD
	;; [unrolled: 1-line block ×3, first 2 shown]
	v_fma_f16 v56, v46, v56, -v59
	v_mul_f16_sdwa v59, v49, v60 dst_sel:DWORD dst_unused:UNUSED_PAD src0_sel:WORD_1 src1_sel:DWORD
	v_mul_f16_sdwa v65, v47, v39 dst_sel:DWORD dst_unused:UNUSED_PAD src0_sel:WORD_1 src1_sel:DWORD
	v_fma_f16 v55, v48, v55, -v57
	v_mul_f16_sdwa v57, v50, v58 dst_sel:DWORD dst_unused:UNUSED_PAD src0_sel:WORD_1 src1_sel:DWORD
	v_fma_f16 v58, v50, v58, -v61
	v_mul_f16_sdwa v61, v47, v63 dst_sel:DWORD dst_unused:UNUSED_PAD src0_sel:WORD_1 src1_sel:DWORD
	v_fmac_f16_e32 v70, v44, v2
	v_lshrrev_b32_e32 v42, 16, v7
	v_fmac_f16_e32 v43, v45, v3
	v_lshrrev_b32_e32 v64, 16, v8
	;; [unrolled: 2-line block ×3, first 2 shown]
	v_lshrrev_b32_e32 v68, 16, v37
	v_fma_f16 v60, v49, v60, -v62
	v_fmac_f16_e32 v71, v46, v10
	v_fmac_f16_e32 v59, v49, v12
	v_lshrrev_b32_e32 v67, 16, v6
	v_lshrrev_b32_e32 v69, 16, v38
	v_fma_f16 v62, v47, v63, -v65
	v_fmac_f16_e32 v57, v50, v11
	v_fmac_f16_e32 v61, v47, v39
	v_sub_f16_e32 v2, v40, v41
	v_sub_f16_e32 v41, v13, v70
	;; [unrolled: 1-line block ×12, first 2 shown]
	v_fma_f16 v40, v40, 2.0, -v2
	v_sub_f16_e32 v48, v6, v57
	v_sub_f16_e32 v54, v38, v61
	v_fma_f16 v13, v13, 2.0, -v41
	v_fma_f16 v42, v42, 2.0, -v3
	;; [unrolled: 1-line block ×13, first 2 shown]
	v_pack_b32_f16 v2, v41, v2
	v_pack_b32_f16 v13, v13, v40
	;; [unrolled: 1-line block ×14, first 2 shown]
	ds_write2_b32 v29, v13, v2 offset1:56
	ds_write_b32 v28, v7 offset:64
	ds_write_b32 v29, v3 offset:288
	;; [unrolled: 1-line block ×4, first 2 shown]
	ds_write2_b32 v4, v5, v10 offset1:56
	ds_write2_b32 v29, v6, v37 offset0:120 offset1:136
	ds_write2_b32 v29, v38, v11 offset0:152 offset1:176
	;; [unrolled: 1-line block ×3, first 2 shown]
	s_waitcnt lgkmcnt(0)
	s_barrier
	buffer_gl0_inv
	ds_read_b32 v37, v29
	ds_read2_b32 v[4:5], v28 offset0:112 offset1:128
	ds_read2_b32 v[2:3], v28 offset0:16 offset1:32
	v_lshlrev_b64 v[39:40], 2, v[0:1]
	ds_read2_b32 v[8:9], v28 offset0:144 offset1:160
	ds_read2_b32 v[0:1], v28 offset0:48 offset1:64
	ds_read2_b32 v[10:11], v28 offset0:176 offset1:192
	ds_read2_b32 v[6:7], v28 offset0:80 offset1:96
	ds_read_b32 v38, v28 offset:832
	v_lshlrev_b64 v[12:13], 2, v[51:52]
	v_add_co_u32 v39, vcc_lo, s0, v39
	v_add_co_ci_u32_e32 v40, vcc_lo, s1, v40, vcc_lo
	s_mov_b32 s0, 0x92492492
	v_add_co_u32 v12, vcc_lo, v39, v12
	v_add_co_ci_u32_e32 v13, vcc_lo, v40, v13, vcc_lo
	s_mov_b32 s1, 0x3f724924
	s_waitcnt lgkmcnt(7)
	v_lshrrev_b32_e32 v39, 16, v37
	s_waitcnt lgkmcnt(6)
	v_lshrrev_b32_e32 v40, 16, v4
	v_lshrrev_b32_e32 v42, 16, v5
	s_waitcnt lgkmcnt(4)
	v_lshrrev_b32_e32 v44, 16, v8
	v_mul_f16_sdwa v53, v30, v4 dst_sel:DWORD dst_unused:UNUSED_PAD src0_sel:WORD_1 src1_sel:DWORD
	v_lshrrev_b32_e32 v46, 16, v9
	s_waitcnt lgkmcnt(2)
	v_lshrrev_b32_e32 v48, 16, v10
	v_lshrrev_b32_e32 v50, 16, v11
	s_waitcnt lgkmcnt(0)
	v_lshrrev_b32_e32 v52, 16, v38
	v_mul_f16_sdwa v54, v31, v5 dst_sel:DWORD dst_unused:UNUSED_PAD src0_sel:WORD_1 src1_sel:DWORD
	v_mul_f16_sdwa v55, v32, v8 dst_sel:DWORD dst_unused:UNUSED_PAD src0_sel:WORD_1 src1_sel:DWORD
	;; [unrolled: 1-line block ×6, first 2 shown]
	v_fma_f16 v40, v30, v40, -v53
	v_mul_f16_sdwa v53, v32, v44 dst_sel:DWORD dst_unused:UNUSED_PAD src0_sel:WORD_1 src1_sel:DWORD
	v_mul_f16_sdwa v58, v35, v11 dst_sel:DWORD dst_unused:UNUSED_PAD src0_sel:WORD_1 src1_sel:DWORD
	;; [unrolled: 1-line block ×3, first 2 shown]
	v_fma_f16 v42, v31, v42, -v54
	v_fma_f16 v44, v32, v44, -v55
	v_mul_f16_sdwa v54, v33, v46 dst_sel:DWORD dst_unused:UNUSED_PAD src0_sel:WORD_1 src1_sel:DWORD
	v_fma_f16 v46, v33, v46, -v56
	v_mul_f16_sdwa v55, v34, v48 dst_sel:DWORD dst_unused:UNUSED_PAD src0_sel:WORD_1 src1_sel:DWORD
	;; [unrolled: 2-line block ×3, first 2 shown]
	v_mul_f16_sdwa v57, v36, v52 dst_sel:DWORD dst_unused:UNUSED_PAD src0_sel:WORD_1 src1_sel:DWORD
	v_fmac_f16_e32 v60, v30, v4
	v_lshrrev_b32_e32 v41, 16, v2
	v_lshrrev_b32_e32 v43, 16, v3
	v_fmac_f16_e32 v61, v31, v5
	v_fmac_f16_e32 v53, v32, v8
	v_lshrrev_b32_e32 v45, 16, v0
	v_lshrrev_b32_e32 v47, 16, v1
	;; [unrolled: 1-line block ×4, first 2 shown]
	v_fma_f16 v50, v35, v50, -v58
	v_fma_f16 v52, v36, v52, -v59
	v_fmac_f16_e32 v54, v33, v9
	v_fmac_f16_e32 v55, v34, v10
	v_fmac_f16_e32 v56, v35, v11
	v_fmac_f16_e32 v57, v36, v38
	v_sub_f16_e32 v4, v39, v40
	v_sub_f16_e32 v31, v37, v60
	;; [unrolled: 1-line block ×14, first 2 shown]
	v_fma_f16 v32, v39, 2.0, -v4
	v_fma_f16 v37, v37, 2.0, -v31
	;; [unrolled: 1-line block ×14, first 2 shown]
	v_pack_b32_f16 v4, v31, v4
	v_pack_b32_f16 v31, v37, v32
	;; [unrolled: 1-line block ×14, first 2 shown]
	ds_write_b32 v29, v31
	ds_write2_b32 v28, v4, v5 offset0:112 offset1:128
	ds_write2_b32 v28, v2, v3 offset0:16 offset1:32
	;; [unrolled: 1-line block ×6, first 2 shown]
	ds_write_b32 v28, v30 offset:832
	s_waitcnt lgkmcnt(0)
	s_barrier
	buffer_gl0_inv
	ds_read_b32 v35, v29
	ds_read2_b32 v[6:7], v28 offset0:16 offset1:32
	ds_read2_b32 v[8:9], v28 offset0:48 offset1:64
	;; [unrolled: 1-line block ×6, first 2 shown]
	ds_read_b32 v28, v28 offset:832
	v_add_co_u32 v0, vcc_lo, v12, s58
	v_add_co_ci_u32_e32 v1, vcc_lo, s59, v13, vcc_lo
	v_add_co_u32 v2, vcc_lo, v0, s58
	v_add_co_ci_u32_e32 v3, vcc_lo, s59, v1, vcc_lo
	;; [unrolled: 2-line block ×3, first 2 shown]
	s_waitcnt lgkmcnt(5)
	v_lshrrev_b32_e32 v40, 16, v9
	v_lshrrev_b32_e32 v36, 16, v35
	v_mul_f16_sdwa v37, v14, v35 dst_sel:DWORD dst_unused:UNUSED_PAD src0_sel:WORD_1 src1_sel:DWORD
	v_lshrrev_b32_e32 v38, 16, v7
	v_mul_f16_sdwa v39, v15, v7 dst_sel:DWORD dst_unused:UNUSED_PAD src0_sel:WORD_1 src1_sel:DWORD
	v_mul_f16_sdwa v41, v16, v9 dst_sel:DWORD dst_unused:UNUSED_PAD src0_sel:WORD_1 src1_sel:DWORD
	s_waitcnt lgkmcnt(4)
	v_lshrrev_b32_e32 v42, 16, v11
	v_mul_f16_sdwa v43, v17, v11 dst_sel:DWORD dst_unused:UNUSED_PAD src0_sel:WORD_1 src1_sel:DWORD
	s_waitcnt lgkmcnt(3)
	v_lshrrev_b32_e32 v44, 16, v30
	;; [unrolled: 3-line block ×4, first 2 shown]
	v_mul_f16_sdwa v49, v21, v34 dst_sel:DWORD dst_unused:UNUSED_PAD src0_sel:WORD_1 src1_sel:DWORD
	v_lshrrev_b32_e32 v50, 16, v6
	v_mul_f16_sdwa v64, v14, v36 dst_sel:DWORD dst_unused:UNUSED_PAD src0_sel:WORD_1 src1_sel:DWORD
	v_fma_f16 v36, v14, v36, -v37
	v_mul_f16_sdwa v37, v15, v38 dst_sel:DWORD dst_unused:UNUSED_PAD src0_sel:WORD_1 src1_sel:DWORD
	v_fma_f16 v38, v15, v38, -v39
	v_mul_f16_sdwa v51, v24, v6 dst_sel:DWORD dst_unused:UNUSED_PAD src0_sel:WORD_1 src1_sel:DWORD
	v_lshrrev_b32_e32 v52, 16, v8
	v_mul_f16_sdwa v53, v23, v8 dst_sel:DWORD dst_unused:UNUSED_PAD src0_sel:WORD_1 src1_sel:DWORD
	v_lshrrev_b32_e32 v54, 16, v10
	;; [unrolled: 2-line block ×5, first 2 shown]
	v_mul_f16_sdwa v61, v26, v33 dst_sel:DWORD dst_unused:UNUSED_PAD src0_sel:WORD_1 src1_sel:DWORD
	s_waitcnt lgkmcnt(0)
	v_lshrrev_b32_e32 v62, 16, v28
	v_mul_f16_sdwa v63, v25, v28 dst_sel:DWORD dst_unused:UNUSED_PAD src0_sel:WORD_1 src1_sel:DWORD
	v_mul_f16_sdwa v39, v16, v40 dst_sel:DWORD dst_unused:UNUSED_PAD src0_sel:WORD_1 src1_sel:DWORD
	v_fma_f16 v40, v16, v40, -v41
	v_mul_f16_sdwa v41, v17, v42 dst_sel:DWORD dst_unused:UNUSED_PAD src0_sel:WORD_1 src1_sel:DWORD
	v_fma_f16 v42, v17, v42, -v43
	;; [unrolled: 2-line block ×5, first 2 shown]
	v_mul_f16_sdwa v49, v24, v50 dst_sel:DWORD dst_unused:UNUSED_PAD src0_sel:WORD_1 src1_sel:DWORD
	v_cvt_f32_f16_e32 v38, v38
	v_fma_f16 v50, v24, v50, -v51
	v_mul_f16_sdwa v51, v23, v52 dst_sel:DWORD dst_unused:UNUSED_PAD src0_sel:WORD_1 src1_sel:DWORD
	v_fma_f16 v52, v23, v52, -v53
	v_fma_f16 v53, v22, v54, -v55
	v_mul_f16_sdwa v54, v22, v54 dst_sel:DWORD dst_unused:UNUSED_PAD src0_sel:WORD_1 src1_sel:DWORD
	v_fma_f16 v55, v20, v56, -v57
	v_fma_f16 v57, v27, v58, -v59
	;; [unrolled: 1-line block ×4, first 2 shown]
	v_cvt_f32_f16_e32 v40, v40
	v_fmac_f16_e32 v37, v15, v7
	v_fmac_f16_e32 v49, v24, v6
	v_cvt_f64_f32_e32 v[6:7], v38
	v_mul_f16_sdwa v56, v20, v56 dst_sel:DWORD dst_unused:UNUSED_PAD src0_sel:WORD_1 src1_sel:DWORD
	v_mul_f16_sdwa v58, v27, v58 dst_sel:DWORD dst_unused:UNUSED_PAD src0_sel:WORD_1 src1_sel:DWORD
	;; [unrolled: 1-line block ×4, first 2 shown]
	v_cvt_f32_f16_e32 v42, v42
	v_fmac_f16_e32 v64, v14, v35
	v_cvt_f32_f16_e32 v35, v46
	v_cvt_f32_f16_e32 v46, v48
	v_fmac_f16_e32 v39, v16, v9
	v_cvt_f32_f16_e32 v48, v50
	v_fmac_f16_e32 v43, v18, v30
	v_fmac_f16_e32 v45, v19, v32
	;; [unrolled: 1-line block ×5, first 2 shown]
	v_cvt_f32_f16_e32 v22, v52
	v_cvt_f32_f16_e32 v24, v53
	;; [unrolled: 1-line block ×6, first 2 shown]
	v_cvt_f64_f32_e32 v[8:9], v40
	v_cvt_f32_f16_e32 v44, v44
	v_fmac_f16_e32 v41, v17, v11
	v_fmac_f16_e32 v56, v20, v29
	;; [unrolled: 1-line block ×5, first 2 shown]
	v_cvt_f64_f32_e32 v[10:11], v42
	v_cvt_f64_f32_e32 v[20:21], v48
	;; [unrolled: 1-line block ×8, first 2 shown]
	v_cvt_f32_f16_e32 v36, v36
	v_cvt_f64_f32_e32 v[14:15], v44
	v_cvt_f32_f16_e32 v38, v64
	v_cvt_f32_f16_e32 v40, v37
	;; [unrolled: 1-line block ×3, first 2 shown]
	v_cvt_f64_f32_e32 v[16:17], v35
	v_cvt_f64_f32_e32 v[34:35], v36
	;; [unrolled: 1-line block ×3, first 2 shown]
	v_cvt_f32_f16_e32 v44, v41
	v_cvt_f64_f32_e32 v[38:39], v40
	v_cvt_f64_f32_e32 v[40:41], v42
	v_mul_f64 v[6:7], v[6:7], s[0:1]
	v_cvt_f64_f32_e32 v[18:19], v46
	v_cvt_f32_f16_e32 v46, v43
	v_cvt_f64_f32_e32 v[42:43], v44
	v_mul_f64 v[8:9], v[8:9], s[0:1]
	v_cvt_f32_f16_e32 v48, v45
	v_cvt_f32_f16_e32 v50, v47
	;; [unrolled: 1-line block ×4, first 2 shown]
	v_cvt_f64_f32_e32 v[44:45], v46
	v_mul_f64 v[10:11], v[10:11], s[0:1]
	v_mul_f64 v[68:69], v[20:21], s[0:1]
	;; [unrolled: 1-line block ×8, first 2 shown]
	v_cvt_f32_f16_e32 v54, v54
	v_cvt_f64_f32_e32 v[46:47], v48
	v_cvt_f64_f32_e32 v[48:49], v50
	;; [unrolled: 1-line block ×4, first 2 shown]
	v_mul_f64 v[14:15], v[14:15], s[0:1]
	v_cvt_f32_f16_e32 v60, v60
	v_cvt_f64_f32_e32 v[54:55], v54
	v_mul_f64 v[64:65], v[16:17], s[0:1]
	v_mul_f64 v[16:17], v[34:35], s[0:1]
	;; [unrolled: 1-line block ×5, first 2 shown]
	v_and_or_b32 v41, 0x1ff, v7, v6
	v_cvt_f64_f32_e32 v[60:61], v60
	v_mul_f64 v[66:67], v[18:19], s[0:1]
	v_mul_f64 v[39:40], v[42:43], s[0:1]
	v_and_or_b32 v43, 0x1ff, v9, v8
	v_cmp_ne_u32_e32 vcc_lo, 0, v41
	v_mul_f64 v[70:71], v[44:45], s[0:1]
	v_and_or_b32 v44, 0x1ff, v11, v10
	v_and_or_b32 v98, 0x1ff, v32, v31
	v_lshrrev_b32_e32 v99, 8, v32
	v_bfe_u32 v100, v32, 20, 11
	v_lshrrev_b32_e32 v6, 16, v32
	v_cndmask_b32_e64 v32, 0, 1, vcc_lo
	v_cmp_ne_u32_e32 vcc_lo, 0, v43
	v_mul_f64 v[72:73], v[52:53], s[0:1]
	v_and_or_b32 v53, 0x1ff, v15, v14
	v_cvt_f32_f16_e32 v62, v62
	v_mul_f64 v[74:75], v[54:55], s[0:1]
	v_cndmask_b32_e64 v41, 0, 1, vcc_lo
	v_cmp_ne_u32_e32 vcc_lo, 0, v44
	v_and_or_b32 v55, 0x1ff, v65, v64
	v_and_or_b32 v104, 0x1ff, v34, v33
	v_cvt_f64_f32_e32 v[62:63], v62
	v_mul_f64 v[76:77], v[60:61], s[0:1]
	v_cndmask_b32_e64 v33, 0, 1, vcc_lo
	v_cmp_ne_u32_e32 vcc_lo, 0, v53
	v_and_or_b32 v60, 0x1ff, v67, v66
	v_and_or_b32 v107, 0x1ff, v36, v35
	;; [unrolled: 1-line block ×4, first 2 shown]
	v_cndmask_b32_e64 v35, 0, 1, vcc_lo
	v_cmp_ne_u32_e32 vcc_lo, 0, v55
	v_cvt_f32_f16_e32 v56, v56
	v_cvt_f32_f16_e32 v58, v58
	v_mul_f64 v[45:46], v[46:47], s[0:1]
	v_lshrrev_b32_e32 v42, 8, v7
	v_cndmask_b32_e64 v43, 0, 1, vcc_lo
	v_cmp_ne_u32_e32 vcc_lo, 0, v60
	v_bfe_u32 v52, v7, 20, 11
	v_bfe_u32 v80, v15, 20, 11
	v_bfe_u32 v81, v65, 20, 11
	v_bfe_u32 v82, v67, 20, 11
	v_cndmask_b32_e64 v44, 0, 1, vcc_lo
	v_cmp_ne_u32_e32 vcc_lo, 0, v68
	v_bfe_u32 v84, v69, 20, 11
	v_and_or_b32 v23, 0x1ff, v24, v23
	v_cvt_f64_f32_e32 v[56:57], v56
	v_cvt_f64_f32_e32 v[58:59], v58
	v_cndmask_b32_e64 v68, 0, 1, vcc_lo
	v_cmp_ne_u32_e32 vcc_lo, 0, v85
	v_mul_f64 v[47:48], v[48:49], s[0:1]
	v_mul_f64 v[49:50], v[50:51], s[0:1]
	;; [unrolled: 1-line block ×3, first 2 shown]
	v_lshrrev_b32_e32 v54, 8, v9
	v_bfe_u32 v63, v9, 20, 11
	v_lshrrev_b32_e32 v51, 8, v11
	v_bfe_u32 v79, v11, 20, 11
	v_lshrrev_b32_e32 v78, 8, v15
	v_lshrrev_b32_e32 v86, 8, v22
	v_bfe_u32 v88, v22, 20, 11
	v_bfe_u32 v89, v24, 20, 11
	v_and_or_b32 v25, 0x1ff, v26, v25
	v_lshrrev_b32_e32 v90, 8, v26
	v_bfe_u32 v91, v26, 20, 11
	v_and_or_b32 v92, 0x1ff, v28, v27
	v_lshrrev_b32_e32 v93, 8, v28
	v_bfe_u32 v94, v28, 20, 11
	v_and_or_b32 v95, 0x1ff, v30, v29
	v_lshrrev_b32_e32 v19, 16, v9
	v_lshrrev_b32_e32 v18, 16, v11
	v_lshrrev_b32_e32 v11, 16, v22
	;; [unrolled: 1-line block ×4, first 2 shown]
	v_sub_nc_u32_e32 v22, 0x3f1, v52
	v_sub_nc_u32_e32 v26, 0x3f1, v80
	;; [unrolled: 1-line block ×5, first 2 shown]
	v_cndmask_b32_e64 v85, 0, 1, vcc_lo
	v_cmp_ne_u32_e32 vcc_lo, 0, v23
	v_and_or_b32 v60, 0xffe, v42, v32
	v_lshrrev_b32_e32 v64, 8, v65
	v_lshrrev_b32_e32 v87, 8, v24
	v_sub_nc_u32_e32 v31, 0x3f1, v89
	v_cndmask_b32_e64 v23, 0, 1, vcc_lo
	v_cmp_ne_u32_e32 vcc_lo, 0, v25
	v_med3_i32 v22, v22, 0, 13
	v_med3_i32 v25, v26, 0, 13
	;; [unrolled: 1-line block ×3, first 2 shown]
	v_and_or_b32 v53, 0xffe, v78, v35
	v_med3_i32 v27, v28, 0, 13
	v_med3_i32 v28, v29, 0, 13
	v_or_b32_e32 v29, 0x1000, v60
	v_lshrrev_b32_e32 v66, 8, v67
	v_lshrrev_b32_e32 v83, 8, v69
	;; [unrolled: 1-line block ×3, first 2 shown]
	v_sub_nc_u32_e32 v24, 0x3f1, v79
	v_and_or_b32 v55, 0xffe, v51, v33
	v_and_or_b32 v51, 0xffe, v64, v43
	v_lshrrev_b32_e32 v123, v22, v29
	v_and_or_b32 v43, 0xffe, v87, v23
	v_med3_i32 v23, v31, 0, 13
	v_or_b32_e32 v31, 0x1000, v53
	v_and_or_b32 v118, 0x1ff, v46, v45
	v_med3_i32 v24, v24, 0, 13
	v_and_or_b32 v45, 0xffe, v66, v44
	v_and_or_b32 v44, 0xffe, v83, v68
	v_or_b32_e32 v32, 0x1000, v55
	v_lshlrev_b32_e32 v22, v22, v123
	v_or_b32_e32 v33, 0x1000, v51
	v_lshrrev_b32_e32 v125, v25, v31
	v_mul_f64 v[56:57], v[56:57], s[0:1]
	v_mul_f64 v[58:59], v[58:59], s[0:1]
	v_lshrrev_b32_e32 v124, v24, v32
	v_cmp_ne_u32_e64 s0, v22, v29
	v_or_b32_e32 v22, 0x1000, v44
	v_lshrrev_b32_e32 v126, v26, v33
	v_lshlrev_b32_e32 v25, v25, v125
	v_lshrrev_b32_e32 v96, 8, v30
	v_bfe_u32 v97, v30, 20, 11
	v_lshrrev_b32_e32 v20, 16, v7
	v_lshrrev_b32_e32 v7, 16, v30
	v_sub_nc_u32_e32 v30, 0x3f1, v88
	v_and_or_b32 v110, 0x1ff, v38, v37
	v_cndmask_b32_e64 v37, 0, 1, vcc_lo
	v_and_or_b32 v42, 0xffe, v86, v85
	v_or_b32_e32 v35, 0x1000, v45
	v_lshlrev_b32_e32 v24, v24, v124
	v_lshlrev_b32_e32 v26, v26, v126
	v_cmp_ne_u32_e64 s1, v25, v31
	v_or_b32_e32 v25, 0x1000, v43
	v_lshrrev_b32_e32 v128, v28, v22
	v_and_or_b32 v101, 0x1ff, v17, v16
	v_lshrrev_b32_e32 v102, 8, v17
	v_bfe_u32 v103, v17, 20, 11
	v_lshrrev_b32_e32 v21, 16, v17
	v_lshrrev_b32_e32 v17, 16, v15
	;; [unrolled: 1-line block ×3, first 2 shown]
	v_sub_nc_u32_e32 v67, 0x3f1, v91
	v_med3_i32 v30, v30, 0, 13
	v_cmp_ne_u32_e32 vcc_lo, v24, v32
	v_or_b32_e32 v24, 0x1000, v42
	v_lshrrev_b32_e32 v127, v27, v35
	v_cmp_ne_u32_e64 s2, v26, v33
	v_lshlrev_b32_e32 v26, v28, v128
	v_lshrrev_b32_e32 v130, v23, v25
	v_and_or_b32 v78, 0xffe, v54, v41
	v_and_or_b32 v54, 0xffe, v90, v37
	v_cmp_ne_u32_e64 s7, 0, v92
	v_lshrrev_b32_e32 v16, 16, v65
	v_sub_nc_u32_e32 v65, 0x3f1, v63
	v_lshrrev_b32_e32 v108, 8, v36
	v_bfe_u32 v109, v36, 20, 11
	v_lshlrev_b32_e32 v27, v27, v127
	v_lshrrev_b32_e32 v129, v30, v24
	v_cmp_ne_u32_e64 s4, v26, v22
	v_lshlrev_b32_e32 v22, v23, v130
	v_and_or_b32 v74, 0x1ff, v75, v74
	v_lshrrev_b32_e32 v133, 8, v75
	v_bfe_u32 v134, v75, 20, 11
	v_lshrrev_b32_e32 v23, 16, v36
	v_lshrrev_b32_e32 v31, 16, v75
	v_cndmask_b32_e64 v36, 0, 1, s7
	v_cmp_ne_u32_e64 s7, 0, v95
	v_add_nc_u32_e32 v86, 0xfffffc10, v52
	v_add_nc_u32_e32 v75, 0xfffffc10, v63
	v_med3_i32 v52, v67, 0, 13
	v_or_b32_e32 v63, 0x1000, v54
	v_lshrrev_b32_e32 v14, 16, v69
	v_sub_nc_u32_e32 v69, 0x3f1, v94
	v_cmp_ne_u32_e64 s3, v27, v35
	v_lshlrev_b32_e32 v27, v30, v129
	v_and_or_b32 v135, 0x1ff, v57, v56
	v_cndmask_b32_e64 v37, 0, 1, s7
	v_cmp_ne_u32_e64 s7, 0, v98
	v_and_or_b32 v56, 0xffe, v93, v36
	v_lshrrev_b32_e32 v92, v52, v63
	v_lshrrev_b32_e32 v119, 8, v46
	v_bfe_u32 v120, v46, 20, 11
	v_cmp_ne_u32_e64 s5, v27, v24
	v_and_or_b32 v58, 0x1ff, v59, v58
	v_lshrrev_b32_e32 v27, 16, v46
	v_lshrrev_b32_e32 v46, 8, v59
	v_bfe_u32 v138, v59, 20, 11
	v_lshrrev_b32_e32 v33, 16, v59
	v_cndmask_b32_e64 v59, 0, 1, s7
	v_cmp_ne_u32_e64 s7, 0, v101
	v_med3_i32 v67, v69, 0, 13
	v_lshlrev_b32_e32 v52, v52, v92
	v_or_b32_e32 v69, 0x1000, v56
	v_cmp_ne_u32_e64 s8, 0, v104
	v_sub_nc_u32_e32 v66, 0x3f1, v100
	v_cndmask_b32_e64 v90, 0, 1, s7
	v_add_nc_u32_e32 v36, 0xfffffc10, v94
	v_cmp_ne_u32_e64 s7, v52, v63
	v_lshrrev_b32_e32 v94, v67, v69
	v_cndmask_b32_e64 v63, 0, 1, s8
	v_cmp_ne_u32_e64 s8, 0, v107
	v_and_or_b32 v113, 0x1ff, v40, v39
	v_and_or_b32 v68, 0x1ff, v73, v72
	v_lshrrev_b32_e32 v85, 8, v73
	v_bfe_u32 v132, v73, 20, 11
	v_lshrrev_b32_e32 v136, 8, v57
	v_bfe_u32 v137, v57, 20, 11
	v_lshrrev_b32_e32 v30, 16, v73
	v_lshrrev_b32_e32 v32, 16, v57
	v_sub_nc_u32_e32 v64, 0x3f1, v97
	v_add_nc_u32_e32 v73, 0xfffffc10, v79
	v_and_or_b32 v57, 0xffe, v96, v37
	v_med3_i32 v93, v65, 0, 13
	v_med3_i32 v79, v66, 0, 13
	v_lshlrev_b32_e32 v65, v67, v94
	v_cndmask_b32_e64 v66, 0, 1, s8
	v_cmp_ne_u32_e64 s8, 0, v110
	v_and_or_b32 v70, 0x1ff, v71, v70
	v_and_or_b32 v59, 0xffe, v99, v59
	v_med3_i32 v64, v64, 0, 13
	v_cmp_ne_u32_e64 s9, 0, v113
	v_cndmask_b32_e64 v67, 0, 1, s8
	v_cmp_ne_u32_e64 s8, v65, v69
	v_or_b32_e32 v69, 0x1000, v57
	v_lshrrev_b32_e32 v105, 8, v34
	v_lshrrev_b32_e32 v111, 8, v38
	v_and_or_b32 v47, 0x1ff, v48, v47
	v_and_or_b32 v139, 0x1ff, v62, v61
	v_lshrrev_b32_e32 v140, 8, v62
	v_bfe_u32 v141, v62, 20, 11
	v_lshrrev_b32_e32 v35, 16, v62
	v_add_nc_u32_e32 v62, 0xfffffc10, v82
	v_add_nc_u32_e32 v39, 0xfffffc10, v88
	v_cndmask_b32_e64 v82, 0, 1, s9
	v_lshrrev_b32_e32 v95, v64, v69
	v_cmp_ne_u32_e64 s9, 0, v70
	v_or_b32_e32 v88, 0x1000, v59
	v_bfe_u32 v106, v34, 20, 11
	v_and_or_b32 v49, 0x1ff, v50, v49
	v_and_or_b32 v65, 0xffe, v105, v63
	v_cndmask_b32_e64 v70, 0, 1, s9
	v_and_or_b32 v63, 0xffe, v111, v67
	v_lshlrev_b32_e32 v67, v64, v95
	v_cmp_ne_u32_e64 s9, 0, v118
	v_lshrrev_b32_e32 v96, v79, v88
	v_cmp_ne_u32_e64 s10, 0, v47
	v_add_nc_u32_e32 v41, 0xfffffc10, v89
	v_sub_nc_u32_e32 v52, 0x3f1, v106
	v_cndmask_b32_e64 v89, 0, 1, s9
	v_cmp_ne_u32_e64 s9, v67, v69
	v_cndmask_b32_e64 v47, 0, 1, s10
	v_lshlrev_b32_e32 v69, v79, v96
	v_cmp_ne_u32_e64 s10, 0, v49
	v_med3_i32 v52, v52, 0, 13
	v_bfe_u32 v112, v38, 20, 11
	v_lshrrev_b32_e32 v116, 8, v71
	v_lshrrev_b32_e32 v83, 8, v50
	v_cndmask_b32_e64 v49, 0, 1, s10
	v_cmp_ne_u32_e64 s10, v69, v88
	v_or_b32_e32 v88, 0x1000, v65
	v_cmp_ne_u32_e64 s11, 0, v68
	v_bfe_u32 v117, v71, 20, 11
	v_lshrrev_b32_e32 v26, 16, v71
	v_add_nc_u32_e32 v72, 0xfffffc10, v80
	v_lshrrev_b32_e32 v99, v52, v88
	v_add_nc_u32_e32 v71, 0xfffffc10, v81
	v_sub_nc_u32_e32 v80, 0x3f1, v109
	v_sub_nc_u32_e32 v81, 0x3f1, v112
	v_and_or_b32 v66, 0xffe, v108, v66
	v_and_or_b32 v67, 0xffe, v116, v70
	v_cndmask_b32_e64 v98, 0, 1, s11
	v_and_or_b32 v70, 0xffe, v83, v49
	v_lshlrev_b32_e32 v49, v52, v99
	v_cmp_ne_u32_e64 s11, 0, v74
	v_med3_i32 v80, v80, 0, 13
	v_or_b32_e32 v52, 0x1000, v66
	v_med3_i32 v81, v81, 0, 13
	v_lshrrev_b32_e32 v114, 8, v40
	v_cndmask_b32_e64 v74, 0, 1, s11
	v_cmp_ne_u32_e64 s11, v49, v88
	v_or_b32_e32 v49, 0x1000, v63
	v_bfe_u32 v115, v40, 20, 11
	v_add_nc_u32_e32 v37, 0xfffffc10, v100
	v_lshrrev_b32_e32 v100, v80, v52
	v_and_or_b32 v83, 0xffe, v85, v98
	v_lshrrev_b32_e32 v98, v81, v49
	v_cmp_ne_u32_e64 s6, v22, v25
	v_lshrrev_b32_e32 v25, 16, v40
	v_add_nc_u32_e32 v61, 0xfffffc10, v84
	v_add_nc_u32_e32 v40, 0xfffffc10, v91
	v_and_or_b32 v91, 0xffe, v102, v90
	v_sub_nc_u32_e32 v84, 0x3f1, v115
	v_and_or_b32 v64, 0xffe, v114, v82
	v_sub_nc_u32_e32 v90, 0x3f1, v120
	v_and_or_b32 v68, 0xffe, v119, v89
	v_cmp_ne_u32_e64 s12, 0, v135
	v_lshlrev_b32_e32 v80, v80, v100
	v_lshlrev_b32_e32 v81, v81, v98
	v_med3_i32 v89, v84, 0, 13
	v_and_or_b32 v84, 0xffe, v133, v74
	v_cndmask_b32_e64 v88, 0, 1, s12
	v_or_b32_e32 v74, 0x1000, v64
	v_cmp_ne_u32_e64 s13, v80, v52
	v_med3_i32 v80, v90, 0, 13
	v_cmp_ne_u32_e64 s12, v81, v49
	v_or_b32_e32 v49, 0x1000, v68
	v_lshrrev_b32_e32 v121, 8, v48
	v_bfe_u32 v122, v48, 20, 11
	v_bfe_u32 v131, v50, 20, 11
	v_lshrrev_b32_e32 v22, 16, v34
	v_lshrrev_b32_e32 v28, 16, v48
	;; [unrolled: 1-line block ×3, first 2 shown]
	v_and_or_b32 v48, 0x1ff, v77, v76
	v_lshrrev_b32_e32 v50, 8, v77
	v_bfe_u32 v76, v77, 20, 11
	v_lshrrev_b32_e32 v34, 16, v77
	v_sub_nc_u32_e32 v77, 0x3f1, v103
	v_add_nc_u32_e32 v87, 0xfffffc10, v103
	v_sub_nc_u32_e32 v82, 0x3f1, v117
	v_lshrrev_b32_e32 v101, v89, v74
	v_lshrrev_b32_e32 v103, v80, v49
	v_sub_nc_u32_e32 v79, 0x3f1, v122
	v_and_or_b32 v69, 0xffe, v121, v47
	v_sub_nc_u32_e32 v47, 0x3f1, v132
	v_med3_i32 v82, v82, 0, 13
	v_or_b32_e32 v52, 0x1000, v67
	v_lshlrev_b32_e32 v81, v89, v101
	v_lshlrev_b32_e32 v80, v80, v103
	v_lshrrev_b32_e32 v24, 16, v38
	v_add_nc_u32_e32 v38, 0xfffffc10, v97
	v_sub_nc_u32_e32 v97, 0x3f1, v131
	v_lshrrev_b32_e32 v102, v82, v52
	v_med3_i32 v79, v79, 0, 13
	v_cmp_ne_u32_e64 s16, v81, v74
	v_or_b32_e32 v74, 0x1000, v69
	v_med3_i32 v47, v47, 0, 13
	v_cmp_ne_u32_e64 s15, v80, v49
	v_or_b32_e32 v49, 0x1000, v83
	v_cmp_ne_u32_e64 s17, 0, v58
	v_and_or_b32 v85, 0xffe, v136, v88
	v_lshlrev_b32_e32 v82, v82, v102
	v_med3_i32 v88, v97, 0, 13
	v_lshrrev_b32_e32 v97, v79, v74
	v_cndmask_b32_e64 v58, 0, 1, s17
	v_lshrrev_b32_e32 v105, v47, v49
	v_sub_nc_u32_e32 v81, 0x3f1, v134
	v_cmp_ne_u32_e64 s14, v82, v52
	v_or_b32_e32 v52, 0x1000, v70
	v_lshlrev_b32_e32 v79, v79, v97
	v_and_or_b32 v90, 0xffe, v46, v58
	v_sub_nc_u32_e32 v46, 0x3f1, v137
	v_lshlrev_b32_e32 v47, v47, v105
	v_lshrrev_b32_e32 v104, v88, v52
	v_med3_i32 v80, v81, 0, 13
	v_cmp_ne_u32_e64 s17, v79, v74
	v_or_b32_e32 v79, 0x1000, v84
	v_med3_i32 v46, v46, 0, 13
	v_cmp_ne_u32_e64 s18, v47, v49
	v_or_b32_e32 v47, 0x1000, v85
	v_lshlrev_b32_e32 v74, v88, v104
	v_lshrrev_b32_e32 v107, v80, v79
	v_cmp_ne_u32_e64 s20, 0, v48
	v_cmp_ne_u32_e64 s21, 0, v139
	v_lshrrev_b32_e32 v108, v46, v47
	v_cmp_ne_u32_e64 s19, v74, v52
	v_sub_nc_u32_e32 v52, 0x3f1, v138
	v_lshlrev_b32_e32 v49, v80, v107
	v_cndmask_b32_e64 v48, 0, 1, s20
	v_lshlrev_b32_e32 v46, v46, v108
	v_or_b32_e32 v58, 0x1000, v90
	v_med3_i32 v52, v52, 0, 13
	v_cmp_ne_u32_e64 s20, v49, v79
	v_cndmask_b32_e64 v49, 0, 1, s21
	v_cmp_ne_u32_e64 s21, v46, v47
	v_med3_i32 v77, v77, 0, 13
	v_add_nc_u32_e32 v47, 0xfffffc10, v109
	v_or_b32_e32 v109, 0x1000, v91
	v_sub_nc_u32_e32 v74, 0x3f1, v76
	v_and_or_b32 v88, 0xffe, v50, v48
	v_lshrrev_b32_e32 v110, v52, v58
	v_and_or_b32 v89, 0xffe, v140, v49
	v_lshrrev_b32_e32 v113, v77, v109
	v_med3_i32 v50, v74, 0, 13
	v_or_b32_e32 v74, 0x1000, v88
	v_lshlrev_b32_e32 v49, v52, v110
	v_add_nc_u32_e32 v46, 0xfffffc10, v112
	v_add_nc_u32_e32 v52, 0xfffffc10, v115
	v_or_b32_e32 v112, 0x1000, v78
	v_lshlrev_b32_e32 v115, v77, v113
	v_lshrrev_b32_e32 v111, v50, v74
	v_cmp_ne_u32_e64 s22, v49, v58
	v_cndmask_b32_e64 v121, 0, 1, s7
	v_lshrrev_b32_e32 v114, v93, v112
	v_cmp_ne_u32_e64 s25, v115, v109
	v_lshlrev_b32_e32 v58, v50, v111
	v_cndmask_b32_e64 v115, 0, 1, s0
	v_or_b32_e32 v92, v92, v121
	v_lshlrev_b32_e32 v93, v93, v114
	v_cndmask_b32_e64 v109, 0, 1, s25
	v_cmp_ne_u32_e64 s23, v58, v74
	v_add_nc_u32_e32 v58, 0xfffffc10, v122
	v_or_b32_e32 v115, v123, v115
	v_cmp_ne_u32_e64 s0, v93, v112
	v_lshl_or_b32 v93, v87, 12, v91
	v_or_b32_e32 v109, v113, v109
	v_cndmask_b32_e64 v113, 0, 1, vcc_lo
	v_cndmask_b32_e64 v122, 0, 1, s8
	v_cndmask_b32_e64 v123, 0, 1, s9
	v_cmp_gt_i32_e32 vcc_lo, 1, v87
	v_cndmask_b32_e64 v112, 0, 1, s0
	v_cndmask_b32_e64 v121, 0, 1, s10
	v_or_b32_e32 v94, v94, v122
	v_cndmask_b32_e64 v122, 0, 1, s11
	v_or_b32_e32 v95, v95, v123
	v_lshl_or_b32 v123, v86, 12, v60
	v_cndmask_b32_e32 v109, v93, v109, vcc_lo
	v_cmp_gt_i32_e32 vcc_lo, 1, v86
	v_or_b32_e32 v112, v114, v112
	v_or_b32_e32 v96, v96, v121
	v_cndmask_b32_e64 v121, 0, 1, s13
	v_or_b32_e32 v99, v99, v122
	v_lshl_or_b32 v122, v75, 12, v78
	v_cndmask_b32_e32 v115, v123, v115, vcc_lo
	v_cmp_gt_i32_e32 vcc_lo, 1, v75
	v_cndmask_b32_e64 v116, 0, 1, s1
	v_or_b32_e32 v113, v124, v113
	v_cndmask_b32_e64 v93, 0, 1, s12
	v_or_b32_e32 v100, v100, v121
	v_lshl_or_b32 v121, v73, 12, v55
	v_cndmask_b32_e32 v112, v122, v112, vcc_lo
	v_cmp_gt_i32_e32 vcc_lo, 1, v73
	v_cndmask_b32_e64 v114, 0, 1, s2
	v_or_b32_e32 v116, v125, v116
	v_or_b32_e32 v93, v98, v93
	v_lshl_or_b32 v98, v72, 12, v53
	v_cndmask_b32_e32 v113, v121, v113, vcc_lo
	v_cmp_gt_i32_e32 vcc_lo, 1, v72
	v_add_nc_u32_e32 v50, 0xfffffc10, v117
	v_cndmask_b32_e64 v117, 0, 1, s3
	v_or_b32_e32 v114, v126, v114
	v_cndmask_b32_e64 v123, 0, 1, s16
	v_lshl_or_b32 v122, v71, 12, v51
	v_cndmask_b32_e32 v116, v98, v116, vcc_lo
	v_cmp_gt_i32_e32 vcc_lo, 1, v71
	v_cndmask_b32_e64 v118, 0, 1, s4
	v_or_b32_e32 v117, v127, v117
	v_or_b32_e32 v101, v101, v123
	v_cndmask_b32_e64 v123, 0, 1, s14
	v_cndmask_b32_e64 v121, 0, 1, s15
	v_lshl_or_b32 v98, v62, 12, v45
	v_cndmask_b32_e32 v114, v122, v114, vcc_lo
	v_cmp_gt_i32_e32 vcc_lo, 1, v62
	v_sub_nc_u32_e32 v48, 0x3f1, v141
	v_cndmask_b32_e64 v119, 0, 1, s5
	v_or_b32_e32 v118, v128, v118
	v_or_b32_e32 v102, v102, v123
	v_cndmask_b32_e64 v123, 0, 1, s17
	v_or_b32_e32 v103, v103, v121
	v_lshl_or_b32 v121, v61, 12, v44
	v_cndmask_b32_e32 v117, v98, v117, vcc_lo
	v_cmp_gt_i32_e32 vcc_lo, 1, v61
	v_med3_i32 v79, v48, 0, 13
	v_add_nc_u32_e32 v48, 0xfffffc10, v120
	v_cndmask_b32_e64 v120, 0, 1, s6
	v_or_b32_e32 v119, v129, v119
	v_cndmask_b32_e64 v122, 0, 1, s19
	v_or_b32_e32 v97, v97, v123
	v_lshl_or_b32 v123, v39, 12, v42
	v_cndmask_b32_e32 v118, v121, v118, vcc_lo
	v_cmp_gt_i32_e32 vcc_lo, 1, v39
	v_or_b32_e32 v120, v130, v120
	v_cndmask_b32_e64 v98, 0, 1, s18
	v_or_b32_e32 v104, v104, v122
	v_lshl_or_b32 v122, v41, 12, v43
	v_cndmask_b32_e32 v119, v123, v119, vcc_lo
	v_cmp_gt_i32_e32 vcc_lo, 1, v41
	v_cndmask_b32_e64 v121, 0, 1, s20
	v_or_b32_e32 v98, v105, v98
	v_lshl_or_b32 v105, v40, 12, v54
	v_or_b32_e32 v80, 0x1000, v89
	v_cndmask_b32_e32 v120, v122, v120, vcc_lo
	v_cmp_gt_i32_e32 vcc_lo, 1, v40
	v_cndmask_b32_e64 v123, 0, 1, s21
	v_or_b32_e32 v107, v107, v121
	v_lshl_or_b32 v121, v36, 12, v56
	v_add_nc_u32_e32 v49, 0xfffffc10, v106
	v_cndmask_b32_e32 v105, v105, v92, vcc_lo
	v_cmp_gt_i32_e32 vcc_lo, 1, v36
	v_lshrrev_b32_e32 v106, v79, v80
	v_cndmask_b32_e64 v122, 0, 1, s22
	v_or_b32_e32 v108, v108, v123
	v_lshl_or_b32 v123, v38, 12, v57
	v_cndmask_b32_e32 v121, v121, v94, vcc_lo
	v_cmp_gt_i32_e32 vcc_lo, 1, v38
	v_lshlrev_b32_e32 v79, v79, v106
	v_cndmask_b32_e64 v92, 0, 1, s23
	v_or_b32_e32 v110, v110, v122
	v_lshl_or_b32 v122, v37, 12, v59
	v_cndmask_b32_e32 v123, v123, v95, vcc_lo
	v_cmp_gt_i32_e32 vcc_lo, 1, v37
	v_cmp_ne_u32_e64 s24, v79, v80
	v_or_b32_e32 v92, v111, v92
	v_lshl_or_b32 v111, v49, 12, v65
	v_lshl_or_b32 v95, v47, 12, v66
	v_cndmask_b32_e32 v122, v122, v96, vcc_lo
	v_cmp_gt_i32_e32 vcc_lo, 1, v49
	v_cndmask_b32_e64 v94, 0, 1, s24
	v_lshl_or_b32 v96, v52, 12, v64
	v_add_nc_u32_e32 v81, 0xfffffc10, v131
	v_add_nc_u32_e32 v82, 0xfffffc10, v132
	v_cndmask_b32_e32 v111, v111, v99, vcc_lo
	v_cmp_gt_i32_e32 vcc_lo, 1, v47
	v_or_b32_e32 v94, v106, v94
	v_lshl_or_b32 v106, v46, 12, v63
	v_lshl_or_b32 v99, v50, 12, v67
	v_add_nc_u32_e32 v80, 0xfffffc10, v134
	v_cndmask_b32_e32 v124, v95, v100, vcc_lo
	v_cmp_gt_i32_e32 vcc_lo, 1, v46
	v_lshl_or_b32 v95, v48, 12, v68
	v_add_nc_u32_e32 v79, 0xfffffc10, v137
	v_add_nc_u32_e32 v77, 0xfffffc10, v138
	;; [unrolled: 1-line block ×3, first 2 shown]
	v_cndmask_b32_e32 v106, v106, v93, vcc_lo
	v_cmp_gt_i32_e32 vcc_lo, 1, v52
	v_lshl_or_b32 v93, v58, 12, v69
	v_add_nc_u32_e32 v74, 0xfffffc10, v141
	v_cndmask_b32_e32 v125, v96, v101, vcc_lo
	v_cmp_gt_i32_e32 vcc_lo, 1, v50
	v_lshl_or_b32 v96, v81, 12, v70
	v_cndmask_b32_e32 v126, v99, v102, vcc_lo
	v_cmp_gt_i32_e32 vcc_lo, 1, v48
	v_lshl_or_b32 v99, v82, 12, v83
	;; [unrolled: 3-line block ×4, first 2 shown]
	v_lshl_or_b32 v97, v76, 12, v88
	v_cndmask_b32_e32 v104, v96, v104, vcc_lo
	v_cmp_gt_i32_e32 vcc_lo, 1, v82
	v_lshl_or_b32 v96, v77, 12, v90
	v_cndmask_b32_e32 v129, v99, v98, vcc_lo
	v_cmp_gt_i32_e32 vcc_lo, 1, v80
	v_cndmask_b32_e32 v107, v95, v107, vcc_lo
	v_cmp_gt_i32_e32 vcc_lo, 1, v79
	v_lshl_or_b32 v95, v74, 12, v89
	v_cndmask_b32_e32 v108, v93, v108, vcc_lo
	v_cmp_gt_i32_e32 vcc_lo, 1, v77
	v_and_b32_e32 v93, 7, v109
	v_cndmask_b32_e32 v110, v96, v110, vcc_lo
	v_cmp_gt_i32_e32 vcc_lo, 1, v76
	v_cmp_lt_i32_e64 s52, 5, v93
	v_cmp_eq_u32_e64 s53, 3, v93
	v_and_b32_e32 v93, 7, v116
	v_lshrrev_b32_e32 v96, 2, v109
	v_cndmask_b32_e32 v130, v97, v92, vcc_lo
	v_and_b32_e32 v92, 7, v115
	v_cmp_gt_i32_e32 vcc_lo, 1, v74
	v_cmp_lt_i32_e64 s44, 5, v93
	v_cmp_eq_u32_e64 s45, 3, v93
	v_and_b32_e32 v93, 7, v119
	v_cmp_lt_i32_e64 s54, 5, v92
	v_cmp_eq_u32_e64 s55, 3, v92
	v_and_b32_e32 v92, 7, v114
	v_cndmask_b32_e32 v131, v95, v94, vcc_lo
	v_and_b32_e32 v94, 7, v112
	v_and_b32_e32 v95, 7, v113
	v_cmp_lt_i32_e32 vcc_lo, 5, v93
	v_cmp_lt_i32_e64 s46, 5, v92
	v_cmp_eq_u32_e64 s47, 3, v92
	v_and_b32_e32 v92, 7, v120
	v_cmp_lt_i32_e64 s48, 5, v94
	v_cmp_eq_u32_e64 s49, 3, v94
	v_and_b32_e32 v94, 7, v117
	;; [unrolled: 3-line block ×4, first 2 shown]
	v_cmp_eq_u32_e64 s1, 3, v93
	v_and_b32_e32 v93, 7, v123
	v_cmp_lt_i32_e64 s40, 5, v94
	v_cmp_eq_u32_e64 s42, 3, v94
	v_and_b32_e32 v94, 7, v105
	v_cmp_lt_i32_e64 s41, 5, v95
	;; [unrolled: 3-line block ×12, first 2 shown]
	v_cmp_eq_u32_e64 s20, 3, v93
	v_and_b32_e32 v93, 7, v129
	v_lshrrev_b32_e32 v97, 2, v115
	s_or_b32 s52, s53, s52
	v_cmp_lt_i32_e64 s23, 5, v94
	v_cmp_eq_u32_e64 s24, 3, v94
	v_and_b32_e32 v94, 7, v108
	v_add_co_ci_u32_e64 v96, s52, 0, v96, s52
	v_cmp_lt_i32_e64 s25, 5, v95
	v_cmp_eq_u32_e64 s26, 3, v95
	v_and_b32_e32 v95, 7, v110
	v_cmp_lt_i32_e64 s31, 5, v92
	v_cmp_eq_u32_e64 s33, 3, v92
	v_add_co_u32 v92, s27, v4, s58
	s_or_b32 s52, s55, s54
	v_cmp_lt_i32_e64 s38, 5, v93
	v_cmp_eq_u32_e64 s39, 3, v93
	v_add_co_ci_u32_e64 v93, s27, s59, v5, s27
	v_add_co_ci_u32_e64 v97, s52, 0, v97, s52
	v_cmp_lt_i32_e64 s34, 5, v94
	v_cmp_eq_u32_e64 s35, 3, v94
	v_and_b32_e32 v94, 7, v130
	v_cmp_ne_u32_e64 s27, 0, v91
	v_cmp_gt_i32_e64 s52, 31, v87
	v_cmp_lt_i32_e64 s36, 5, v95
	v_cmp_eq_u32_e64 s37, 3, v95
	v_and_b32_e32 v95, 7, v131
	v_cndmask_b32_e64 v91, 0, 1, s27
	v_cmp_lt_i32_e64 s27, 5, v94
	v_cmp_eq_u32_e64 s28, 3, v94
	v_add_co_u32 v94, s56, v92, s58
	v_cndmask_b32_e64 v96, 0x7c00, v96, s52
	v_cmp_gt_i32_e64 s52, 31, v86
	v_cmp_lt_i32_e64 s29, 5, v95
	v_cmp_eq_u32_e64 s30, 3, v95
	v_add_co_ci_u32_e64 v95, s56, s59, v93, s56
	v_cmp_ne_u32_e64 s56, 0, v60
	v_lshl_or_b32 v91, v91, 9, 0x7c00
	v_cndmask_b32_e64 v98, 0x7c00, v97, s52
	v_cmp_eq_u32_e64 s52, 0x40f, v87
	s_or_b32 s48, s49, s48
	v_cndmask_b32_e64 v60, 0, 1, s56
	s_or_b32 s44, s45, s44
	s_or_b32 s40, s42, s40
	v_cndmask_b32_e64 v91, v96, v91, s52
	v_add_co_u32 v96, s52, v94, s58
	v_add_co_ci_u32_e64 v97, s52, s59, v95, s52
	v_lshl_or_b32 v60, v60, 9, 0x7c00
	v_cmp_eq_u32_e64 s52, 0x40f, v86
	s_or_b32 vcc_lo, s1, vcc_lo
	v_mad_u64_u32 v[86:87], null, 0xfffffd40, s60, v[96:97]
	v_lshrrev_b32_e32 v105, 2, v105
	v_cndmask_b32_e64 v109, v98, v60, s52
	s_mul_i32 s52, s61, 0xfffffd40
	v_lshrrev_b32_e32 v98, 2, v113
	s_sub_i32 s53, s52, s60
	v_cmp_ne_u32_e64 s52, 0, v78
	v_lshrrev_b32_e32 v78, 2, v112
	v_add_nc_u32_e32 v87, s53, v87
	v_lshrrev_b32_e32 v112, 2, v120
	v_lshrrev_b32_e32 v113, 2, v121
	v_cndmask_b32_e64 v60, 0, 1, s52
	v_add_co_ci_u32_e64 v78, s48, 0, v78, s48
	s_or_b32 s48, s51, s50
	v_cmp_ne_u32_e64 s52, 0, v55
	v_add_co_ci_u32_e64 v98, s48, 0, v98, s48
	v_cmp_gt_i32_e64 s48, 31, v75
	v_lshl_or_b32 v60, v60, 9, 0x7c00
	v_cndmask_b32_e64 v55, 0, 1, s52
	v_lshrrev_b32_e32 v115, 2, v122
	v_lshrrev_b32_e32 v107, 2, v107
	v_cndmask_b32_e64 v78, 0x7c00, v78, s48
	v_cmp_gt_i32_e64 s48, 31, v73
	v_lshl_or_b32 v55, v55, 9, 0x7c00
	v_lshrrev_b32_e32 v108, 2, v108
	v_lshrrev_b32_e32 v110, 2, v110
	;; [unrolled: 1-line block ×3, first 2 shown]
	v_cndmask_b32_e64 v100, 0x7c00, v98, s48
	v_cmp_eq_u32_e64 s48, 0x40f, v75
	v_lshrrev_b32_e32 v106, 2, v106
	v_lshrrev_b32_e32 v120, 2, v127
	;; [unrolled: 1-line block ×4, first 2 shown]
	v_cndmask_b32_e64 v75, v78, v60, s48
	v_add_co_u32 v98, s48, v86, s58
	v_add_co_ci_u32_e64 v99, s48, s59, v87, s48
	v_cmp_ne_u32_e64 s48, 0, v53
	v_lshrrev_b32_e32 v60, 2, v116
	v_lshrrev_b32_e32 v116, 2, v129
	;; [unrolled: 1-line block ×3, first 2 shown]
	v_and_or_b32 v21, 0x8000, v21, v91
	v_cndmask_b32_e64 v53, 0, 1, s48
	v_cmp_eq_u32_e64 s48, 0x40f, v73
	v_lshrrev_b32_e32 v73, 2, v114
	v_add_co_ci_u32_e64 v60, s44, 0, v60, s44
	s_or_b32 s44, s47, s46
	v_cndmask_b32_e64 v55, v100, v55, s48
	v_add_co_ci_u32_e64 v73, s44, 0, v73, s44
	v_cmp_gt_i32_e64 s44, 31, v72
	v_add_co_u32 v100, s48, v98, s58
	v_lshl_or_b32 v53, v53, 9, 0x7c00
	v_add_co_ci_u32_e64 v101, s48, s59, v99, s48
	v_cndmask_b32_e64 v60, 0x7c00, v60, s44
	v_cmp_gt_i32_e64 s44, 31, v71
	v_cmp_ne_u32_e64 s48, 0, v51
	v_lshrrev_b32_e32 v114, 2, v123
	v_lshrrev_b32_e32 v123, 2, v131
	v_and_or_b32 v20, 0x8000, v20, v109
	v_cndmask_b32_e64 v78, 0x7c00, v73, s44
	v_cmp_eq_u32_e64 s44, 0x40f, v72
	v_cndmask_b32_e64 v51, 0, 1, s48
	v_and_or_b32 v19, 0x8000, v19, v75
	v_and_or_b32 v18, 0x8000, v18, v55
	v_cndmask_b32_e64 v53, v60, v53, s44
	v_add_co_u32 v72, s44, v100, s58
	v_add_co_ci_u32_e64 v73, s44, s59, v101, s44
	v_cmp_ne_u32_e64 s44, 0, v45
	v_lshrrev_b32_e32 v60, 2, v117
	v_lshl_or_b32 v51, v51, 9, 0x7c00
	v_lshrrev_b32_e32 v117, 2, v124
	v_and_or_b32 v17, 0x8000, v17, v53
	v_cndmask_b32_e64 v45, 0, 1, s44
	v_cmp_eq_u32_e64 s44, 0x40f, v71
	v_lshrrev_b32_e32 v71, 2, v118
	v_add_co_ci_u32_e64 v60, s40, 0, v60, s40
	s_or_b32 s40, s43, s41
	v_cndmask_b32_e64 v51, v78, v51, s44
	v_add_co_ci_u32_e64 v71, s40, 0, v71, s40
	v_cmp_gt_i32_e64 s40, 31, v62
	v_add_co_u32 v102, s44, v72, s58
	v_add_co_ci_u32_e64 v103, s44, s59, v73, s44
	v_cmp_ne_u32_e64 s44, 0, v44
	v_cndmask_b32_e64 v60, 0x7c00, v60, s40
	v_cmp_gt_i32_e64 s40, 31, v61
	v_lshl_or_b32 v45, v45, 9, 0x7c00
	v_lshrrev_b32_e32 v118, 2, v125
	v_cndmask_b32_e64 v44, 0, 1, s44
	v_and_or_b32 v16, 0x8000, v16, v51
	v_cndmask_b32_e64 v71, 0x7c00, v71, s40
	v_cmp_eq_u32_e64 s40, 0x40f, v62
	v_lshl_or_b32 v78, v44, 9, 0x7c00
	v_cndmask_b32_e64 v62, v60, v45, s40
	v_add_co_u32 v44, s40, v102, s58
	v_add_co_ci_u32_e64 v45, s40, s59, v103, s40
	v_cmp_eq_u32_e64 s40, 0x40f, v61
	v_and_or_b32 v15, 0x8000, v15, v62
	v_cndmask_b32_e64 v71, v71, v78, s40
	v_add_co_u32 v60, s40, v44, s58
	v_add_co_ci_u32_e64 v61, s40, s59, v45, s40
	v_cmp_ne_u32_e64 s40, 0, v42
	v_and_or_b32 v14, 0x8000, v14, v71
	v_cndmask_b32_e64 v42, 0, 1, s40
	v_cmp_ne_u32_e64 s40, 0, v43
	v_lshl_or_b32 v42, v42, 9, 0x7c00
	v_cndmask_b32_e64 v43, 0, 1, s40
	v_cmp_ne_u32_e64 s40, 0, v54
	v_lshl_or_b32 v43, v43, 9, 0x7c00
	;; [unrolled: 3-line block ×8, first 2 shown]
	v_cndmask_b32_e64 v84, 0, 1, s40
	v_cmp_ne_u32_e64 s40, 0, v90
	v_lshrrev_b32_e32 v90, 2, v119
	v_lshrrev_b32_e32 v119, 2, v126
	v_lshl_or_b32 v84, v84, 9, 0x7c00
	v_cndmask_b32_e64 v85, 0, 1, s40
	v_add_co_ci_u32_e32 v90, vcc_lo, 0, v90, vcc_lo
	s_or_b32 vcc_lo, s5, s3
	v_cmp_ne_u32_e64 s40, 0, v65
	v_add_co_ci_u32_e32 v112, vcc_lo, 0, v112, vcc_lo
	s_or_b32 vcc_lo, s13, s10
	v_lshl_or_b32 v85, v85, 9, 0x7c00
	v_add_co_ci_u32_e32 v105, vcc_lo, 0, v105, vcc_lo
	s_or_b32 vcc_lo, s14, s11
	v_cndmask_b32_e64 v65, 0, 1, s40
	v_add_co_ci_u32_e32 v113, vcc_lo, 0, v113, vcc_lo
	s_or_b32 vcc_lo, s8, s7
	v_cmp_ne_u32_e64 s40, 0, v66
	v_add_co_ci_u32_e32 v114, vcc_lo, 0, v114, vcc_lo
	s_or_b32 vcc_lo, s18, s15
	v_lshl_or_b32 v65, v65, 9, 0x7c00
	v_add_co_ci_u32_e32 v115, vcc_lo, 0, v115, vcc_lo
	v_cmp_gt_i32_e32 vcc_lo, 31, v39
	v_cndmask_b32_e64 v66, 0, 1, s40
	v_cmp_ne_u32_e64 s40, 0, v63
	v_cndmask_b32_e32 v90, 0x7c00, v90, vcc_lo
	v_cmp_gt_i32_e32 vcc_lo, 31, v41
	v_cndmask_b32_e64 v63, 0, 1, s40
	v_cmp_ne_u32_e64 s40, 0, v64
	v_lshl_or_b32 v66, v66, 9, 0x7c00
	v_cndmask_b32_e32 v112, 0x7c00, v112, vcc_lo
	v_cmp_gt_i32_e32 vcc_lo, 31, v40
	v_cndmask_b32_e64 v64, 0, 1, s40
	v_cmp_ne_u32_e64 s40, 0, v67
	v_lshl_or_b32 v63, v63, 9, 0x7c00
	v_cndmask_b32_e32 v105, 0x7c00, v105, vcc_lo
	s_or_b32 vcc_lo, s39, s38
	v_cndmask_b32_e64 v67, 0, 1, s40
	v_add_co_ci_u32_e32 v116, vcc_lo, 0, v116, vcc_lo
	s_or_b32 vcc_lo, s33, s31
	v_cmp_ne_u32_e64 s40, 0, v68
	v_add_co_ci_u32_e32 v107, vcc_lo, 0, v107, vcc_lo
	s_or_b32 vcc_lo, s35, s34
	v_lshl_or_b32 v64, v64, 9, 0x7c00
	v_add_co_ci_u32_e32 v108, vcc_lo, 0, v108, vcc_lo
	s_or_b32 vcc_lo, s37, s36
	v_cndmask_b32_e64 v68, 0, 1, s40
	v_add_co_ci_u32_e32 v110, vcc_lo, 0, v110, vcc_lo
	v_cmp_gt_i32_e32 vcc_lo, 31, v36
	v_cmp_ne_u32_e64 s40, 0, v69
	v_lshl_or_b32 v67, v67, 9, 0x7c00
	v_lshl_or_b32 v68, v68, 9, 0x7c00
	v_cndmask_b32_e32 v113, 0x7c00, v113, vcc_lo
	v_cmp_gt_i32_e32 vcc_lo, 31, v38
	v_cndmask_b32_e64 v69, 0, 1, s40
	v_cmp_ne_u32_e64 s40, 0, v70
	v_cndmask_b32_e32 v114, 0x7c00, v114, vcc_lo
	v_cmp_gt_i32_e32 vcc_lo, 31, v37
	v_cndmask_b32_e64 v70, 0, 1, s40
	v_lshl_or_b32 v69, v69, 9, 0x7c00
	v_cmp_ne_u32_e64 s40, 0, v88
	v_cndmask_b32_e32 v115, 0x7c00, v115, vcc_lo
	s_or_b32 vcc_lo, s2, s0
	v_lshl_or_b32 v70, v70, 9, 0x7c00
	v_add_co_ci_u32_e32 v111, vcc_lo, 0, v111, vcc_lo
	s_or_b32 vcc_lo, s6, s4
	v_cndmask_b32_e64 v88, 0, 1, s40
	v_add_co_ci_u32_e32 v117, vcc_lo, 0, v117, vcc_lo
	s_or_b32 vcc_lo, s12, s9
	v_cmp_ne_u32_e64 s40, 0, v89
	v_add_co_ci_u32_e32 v106, vcc_lo, 0, v106, vcc_lo
	s_or_b32 vcc_lo, s17, s16
	v_lshl_or_b32 v88, v88, 9, 0x7c00
	v_add_co_ci_u32_e32 v118, vcc_lo, 0, v118, vcc_lo
	s_or_b32 vcc_lo, s20, s19
	v_cndmask_b32_e64 v89, 0, 1, s40
	v_add_co_ci_u32_e32 v119, vcc_lo, 0, v119, vcc_lo
	s_or_b32 vcc_lo, s22, s21
	v_add_co_ci_u32_e32 v120, vcc_lo, 0, v120, vcc_lo
	s_or_b32 vcc_lo, s24, s23
	v_lshl_or_b32 v89, v89, 9, 0x7c00
	v_add_co_ci_u32_e32 v121, vcc_lo, 0, v121, vcc_lo
	s_or_b32 vcc_lo, s26, s25
	v_add_co_ci_u32_e32 v104, vcc_lo, 0, v104, vcc_lo
	s_or_b32 vcc_lo, s28, s27
	;; [unrolled: 2-line block ×3, first 2 shown]
	v_add_co_ci_u32_e32 v123, vcc_lo, 0, v123, vcc_lo
	v_cmp_eq_u32_e32 vcc_lo, 0x40f, v39
	v_cndmask_b32_e32 v39, v90, v42, vcc_lo
	v_cmp_eq_u32_e32 vcc_lo, 0x40f, v41
	v_and_or_b32 v11, 0x8000, v11, v39
	v_cndmask_b32_e32 v41, v112, v43, vcc_lo
	v_cmp_eq_u32_e32 vcc_lo, 0x40f, v40
	v_and_or_b32 v10, 0x8000, v10, v41
	v_cndmask_b32_e32 v40, v105, v54, vcc_lo
	v_cmp_gt_i32_e32 vcc_lo, 31, v82
	v_and_or_b32 v9, 0x8000, v9, v40
	v_cndmask_b32_e32 v42, 0x7c00, v116, vcc_lo
	v_cmp_gt_i32_e32 vcc_lo, 31, v80
	v_cndmask_b32_e32 v43, 0x7c00, v107, vcc_lo
	v_cmp_gt_i32_e32 vcc_lo, 31, v79
	;; [unrolled: 2-line block ×3, first 2 shown]
	v_cndmask_b32_e32 v90, 0x7c00, v110, vcc_lo
	v_cmp_eq_u32_e32 vcc_lo, 0x40f, v36
	v_cndmask_b32_e32 v36, v113, v56, vcc_lo
	v_cmp_eq_u32_e32 vcc_lo, 0x40f, v38
	v_and_or_b32 v8, 0x8000, v8, v36
	v_cndmask_b32_e32 v38, v114, v57, vcc_lo
	v_cmp_eq_u32_e32 vcc_lo, 0x40f, v37
	v_and_or_b32 v7, 0x8000, v7, v38
	v_cndmask_b32_e32 v37, v115, v59, vcc_lo
	v_cmp_gt_i32_e32 vcc_lo, 31, v49
	v_and_or_b32 v6, 0x8000, v6, v37
	v_cndmask_b32_e32 v56, 0x7c00, v111, vcc_lo
	v_cmp_gt_i32_e32 vcc_lo, 31, v47
	v_cndmask_b32_e32 v57, 0x7c00, v117, vcc_lo
	v_cmp_gt_i32_e32 vcc_lo, 31, v46
	;; [unrolled: 2-line block ×9, first 2 shown]
	v_cndmask_b32_e32 v111, 0x7c00, v123, vcc_lo
	v_cmp_eq_u32_e32 vcc_lo, 0x40f, v49
	v_cndmask_b32_e32 v49, v56, v65, vcc_lo
	v_cmp_eq_u32_e32 vcc_lo, 0x40f, v47
	v_and_or_b32 v22, 0x8000, v22, v49
	v_cndmask_b32_e32 v47, v57, v66, vcc_lo
	v_cmp_eq_u32_e32 vcc_lo, 0x40f, v46
	v_and_b32_e32 v22, 0xffff, v22
	v_and_or_b32 v23, 0x8000, v23, v47
	v_cndmask_b32_e32 v46, v59, v63, vcc_lo
	v_cmp_eq_u32_e32 vcc_lo, 0x40f, v52
	v_lshl_or_b32 v21, v21, 16, v22
	v_and_b32_e32 v23, 0xffff, v23
	v_and_or_b32 v24, 0x8000, v24, v46
	v_cndmask_b32_e32 v52, v105, v64, vcc_lo
	v_cmp_eq_u32_e32 vcc_lo, 0x40f, v50
	v_lshl_or_b32 v20, v20, 16, v23
	;; [unrolled: 5-line block ×11, first 2 shown]
	v_and_b32_e32 v33, 0xffff, v33
	v_and_or_b32 v34, 0x8000, v34, v36
	v_cndmask_b32_e32 v38, v111, v89, vcc_lo
	v_lshl_or_b32 v8, v8, 16, v33
	v_and_b32_e32 v34, 0xffff, v34
	v_and_or_b32 v35, 0x8000, v35, v38
	v_lshl_or_b32 v7, v7, 16, v34
	v_and_b32_e32 v35, 0xffff, v35
	v_lshl_or_b32 v6, v6, 16, v35
	global_store_dword v[12:13], v21, off
	global_store_dword v[0:1], v20, off
	;; [unrolled: 1-line block ×14, first 2 shown]
.LBB0_2:
	s_endpgm
	.section	.rodata,"a",@progbits
	.p2align	6, 0x0
	.amdhsa_kernel bluestein_single_back_len224_dim1_half_op_CI_CI
		.amdhsa_group_segment_fixed_size 3584
		.amdhsa_private_segment_fixed_size 0
		.amdhsa_kernarg_size 104
		.amdhsa_user_sgpr_count 6
		.amdhsa_user_sgpr_private_segment_buffer 1
		.amdhsa_user_sgpr_dispatch_ptr 0
		.amdhsa_user_sgpr_queue_ptr 0
		.amdhsa_user_sgpr_kernarg_segment_ptr 1
		.amdhsa_user_sgpr_dispatch_id 0
		.amdhsa_user_sgpr_flat_scratch_init 0
		.amdhsa_user_sgpr_private_segment_size 0
		.amdhsa_wavefront_size32 1
		.amdhsa_uses_dynamic_stack 0
		.amdhsa_system_sgpr_private_segment_wavefront_offset 0
		.amdhsa_system_sgpr_workgroup_id_x 1
		.amdhsa_system_sgpr_workgroup_id_y 0
		.amdhsa_system_sgpr_workgroup_id_z 0
		.amdhsa_system_sgpr_workgroup_info 0
		.amdhsa_system_vgpr_workitem_id 0
		.amdhsa_next_free_vgpr 142
		.amdhsa_next_free_sgpr 64
		.amdhsa_reserve_vcc 1
		.amdhsa_reserve_flat_scratch 0
		.amdhsa_float_round_mode_32 0
		.amdhsa_float_round_mode_16_64 0
		.amdhsa_float_denorm_mode_32 3
		.amdhsa_float_denorm_mode_16_64 3
		.amdhsa_dx10_clamp 1
		.amdhsa_ieee_mode 1
		.amdhsa_fp16_overflow 0
		.amdhsa_workgroup_processor_mode 1
		.amdhsa_memory_ordered 1
		.amdhsa_forward_progress 0
		.amdhsa_shared_vgpr_count 0
		.amdhsa_exception_fp_ieee_invalid_op 0
		.amdhsa_exception_fp_denorm_src 0
		.amdhsa_exception_fp_ieee_div_zero 0
		.amdhsa_exception_fp_ieee_overflow 0
		.amdhsa_exception_fp_ieee_underflow 0
		.amdhsa_exception_fp_ieee_inexact 0
		.amdhsa_exception_int_div_zero 0
	.end_amdhsa_kernel
	.text
.Lfunc_end0:
	.size	bluestein_single_back_len224_dim1_half_op_CI_CI, .Lfunc_end0-bluestein_single_back_len224_dim1_half_op_CI_CI
                                        ; -- End function
	.section	.AMDGPU.csdata,"",@progbits
; Kernel info:
; codeLenInByte = 20996
; NumSgprs: 66
; NumVgprs: 142
; ScratchSize: 0
; MemoryBound: 0
; FloatMode: 240
; IeeeMode: 1
; LDSByteSize: 3584 bytes/workgroup (compile time only)
; SGPRBlocks: 8
; VGPRBlocks: 17
; NumSGPRsForWavesPerEU: 66
; NumVGPRsForWavesPerEU: 142
; Occupancy: 7
; WaveLimiterHint : 1
; COMPUTE_PGM_RSRC2:SCRATCH_EN: 0
; COMPUTE_PGM_RSRC2:USER_SGPR: 6
; COMPUTE_PGM_RSRC2:TRAP_HANDLER: 0
; COMPUTE_PGM_RSRC2:TGID_X_EN: 1
; COMPUTE_PGM_RSRC2:TGID_Y_EN: 0
; COMPUTE_PGM_RSRC2:TGID_Z_EN: 0
; COMPUTE_PGM_RSRC2:TIDIG_COMP_CNT: 0
	.text
	.p2alignl 6, 3214868480
	.fill 48, 4, 3214868480
	.type	__hip_cuid_91208a1f775fb19d,@object ; @__hip_cuid_91208a1f775fb19d
	.section	.bss,"aw",@nobits
	.globl	__hip_cuid_91208a1f775fb19d
__hip_cuid_91208a1f775fb19d:
	.byte	0                               ; 0x0
	.size	__hip_cuid_91208a1f775fb19d, 1

	.ident	"AMD clang version 19.0.0git (https://github.com/RadeonOpenCompute/llvm-project roc-6.4.0 25133 c7fe45cf4b819c5991fe208aaa96edf142730f1d)"
	.section	".note.GNU-stack","",@progbits
	.addrsig
	.addrsig_sym __hip_cuid_91208a1f775fb19d
	.amdgpu_metadata
---
amdhsa.kernels:
  - .args:
      - .actual_access:  read_only
        .address_space:  global
        .offset:         0
        .size:           8
        .value_kind:     global_buffer
      - .actual_access:  read_only
        .address_space:  global
        .offset:         8
        .size:           8
        .value_kind:     global_buffer
      - .actual_access:  read_only
        .address_space:  global
        .offset:         16
        .size:           8
        .value_kind:     global_buffer
      - .actual_access:  read_only
        .address_space:  global
        .offset:         24
        .size:           8
        .value_kind:     global_buffer
      - .actual_access:  read_only
        .address_space:  global
        .offset:         32
        .size:           8
        .value_kind:     global_buffer
      - .offset:         40
        .size:           8
        .value_kind:     by_value
      - .address_space:  global
        .offset:         48
        .size:           8
        .value_kind:     global_buffer
      - .address_space:  global
        .offset:         56
        .size:           8
        .value_kind:     global_buffer
      - .address_space:  global
        .offset:         64
        .size:           8
        .value_kind:     global_buffer
      - .address_space:  global
        .offset:         72
        .size:           8
        .value_kind:     global_buffer
      - .offset:         80
        .size:           4
        .value_kind:     by_value
      - .address_space:  global
        .offset:         88
        .size:           8
        .value_kind:     global_buffer
      - .address_space:  global
        .offset:         96
        .size:           8
        .value_kind:     global_buffer
    .group_segment_fixed_size: 3584
    .kernarg_segment_align: 8
    .kernarg_segment_size: 104
    .language:       OpenCL C
    .language_version:
      - 2
      - 0
    .max_flat_workgroup_size: 64
    .name:           bluestein_single_back_len224_dim1_half_op_CI_CI
    .private_segment_fixed_size: 0
    .sgpr_count:     66
    .sgpr_spill_count: 0
    .symbol:         bluestein_single_back_len224_dim1_half_op_CI_CI.kd
    .uniform_work_group_size: 1
    .uses_dynamic_stack: false
    .vgpr_count:     142
    .vgpr_spill_count: 0
    .wavefront_size: 32
    .workgroup_processor_mode: 1
amdhsa.target:   amdgcn-amd-amdhsa--gfx1030
amdhsa.version:
  - 1
  - 2
...

	.end_amdgpu_metadata
